;; amdgpu-corpus repo=ROCm/composable_kernel kind=compiled arch=gfx1201 opt=O3
	.amdgcn_target "amdgcn-amd-amdhsa--gfx1201"
	.amdhsa_code_object_version 6
	.section	.text._ZN2ckL12flush_icacheEv,"axG",@progbits,_ZN2ckL12flush_icacheEv,comdat
	.globl	_ZN2ckL12flush_icacheEv         ; -- Begin function _ZN2ckL12flush_icacheEv
	.p2align	8
	.type	_ZN2ckL12flush_icacheEv,@function
_ZN2ckL12flush_icacheEv:                ; @_ZN2ckL12flush_icacheEv
; %bb.0:
	;;#ASMSTART
	s_icache_inv 
	s_nop 0 
	s_nop 0 
	;; [unrolled: 1-line block ×16, first 2 shown]
	
	;;#ASMEND
	s_endpgm
	.section	.rodata,"a",@progbits
	.p2align	6, 0x0
	.amdhsa_kernel _ZN2ckL12flush_icacheEv
		.amdhsa_group_segment_fixed_size 0
		.amdhsa_private_segment_fixed_size 0
		.amdhsa_kernarg_size 0
		.amdhsa_user_sgpr_count 0
		.amdhsa_user_sgpr_dispatch_ptr 0
		.amdhsa_user_sgpr_queue_ptr 0
		.amdhsa_user_sgpr_kernarg_segment_ptr 0
		.amdhsa_user_sgpr_dispatch_id 0
		.amdhsa_user_sgpr_private_segment_size 0
		.amdhsa_wavefront_size32 1
		.amdhsa_uses_dynamic_stack 0
		.amdhsa_enable_private_segment 0
		.amdhsa_system_sgpr_workgroup_id_x 1
		.amdhsa_system_sgpr_workgroup_id_y 0
		.amdhsa_system_sgpr_workgroup_id_z 0
		.amdhsa_system_sgpr_workgroup_info 0
		.amdhsa_system_vgpr_workitem_id 0
		.amdhsa_next_free_vgpr 1
		.amdhsa_next_free_sgpr 1
		.amdhsa_reserve_vcc 0
		.amdhsa_float_round_mode_32 0
		.amdhsa_float_round_mode_16_64 0
		.amdhsa_float_denorm_mode_32 3
		.amdhsa_float_denorm_mode_16_64 3
		.amdhsa_fp16_overflow 0
		.amdhsa_workgroup_processor_mode 1
		.amdhsa_memory_ordered 1
		.amdhsa_forward_progress 1
		.amdhsa_inst_pref_size 1
		.amdhsa_round_robin_scheduling 0
		.amdhsa_exception_fp_ieee_invalid_op 0
		.amdhsa_exception_fp_denorm_src 0
		.amdhsa_exception_fp_ieee_div_zero 0
		.amdhsa_exception_fp_ieee_overflow 0
		.amdhsa_exception_fp_ieee_underflow 0
		.amdhsa_exception_fp_ieee_inexact 0
		.amdhsa_exception_int_div_zero 0
	.end_amdhsa_kernel
	.section	.text._ZN2ckL12flush_icacheEv,"axG",@progbits,_ZN2ckL12flush_icacheEv,comdat
.Lfunc_end0:
	.size	_ZN2ckL12flush_icacheEv, .Lfunc_end0-_ZN2ckL12flush_icacheEv
                                        ; -- End function
	.set _ZN2ckL12flush_icacheEv.num_vgpr, 0
	.set _ZN2ckL12flush_icacheEv.num_agpr, 0
	.set _ZN2ckL12flush_icacheEv.numbered_sgpr, 0
	.set _ZN2ckL12flush_icacheEv.num_named_barrier, 0
	.set _ZN2ckL12flush_icacheEv.private_seg_size, 0
	.set _ZN2ckL12flush_icacheEv.uses_vcc, 0
	.set _ZN2ckL12flush_icacheEv.uses_flat_scratch, 0
	.set _ZN2ckL12flush_icacheEv.has_dyn_sized_stack, 0
	.set _ZN2ckL12flush_icacheEv.has_recursion, 0
	.set _ZN2ckL12flush_icacheEv.has_indirect_call, 0
	.section	.AMDGPU.csdata,"",@progbits
; Kernel info:
; codeLenInByte = 4
; TotalNumSgprs: 0
; NumVgprs: 0
; ScratchSize: 0
; MemoryBound: 0
; FloatMode: 240
; IeeeMode: 1
; LDSByteSize: 0 bytes/workgroup (compile time only)
; SGPRBlocks: 0
; VGPRBlocks: 0
; NumSGPRsForWavesPerEU: 1
; NumVGPRsForWavesPerEU: 1
; Occupancy: 16
; WaveLimiterHint : 0
; COMPUTE_PGM_RSRC2:SCRATCH_EN: 0
; COMPUTE_PGM_RSRC2:USER_SGPR: 0
; COMPUTE_PGM_RSRC2:TRAP_HANDLER: 0
; COMPUTE_PGM_RSRC2:TGID_X_EN: 1
; COMPUTE_PGM_RSRC2:TGID_Y_EN: 0
; COMPUTE_PGM_RSRC2:TGID_Z_EN: 0
; COMPUTE_PGM_RSRC2:TIDIG_COMP_CNT: 0
	.section	.text._ZN2ck27kernel_gemm_xdl_cshuffle_v3INS_28GridwiseGemm_xdl_cshuffle_v3INS_13tensor_layout4gemm8RowMajorENS3_11ColumnMajorES4_DF16_NS_7pk_i4_tEfDF16_DF16_NS_16tensor_operation12element_wise11PassThroughES9_S9_LNS7_6device18GemmSpecializationE0ELi256ELi1ELi128ELi128ELi128ELi64ELi8ELi16ELi16ELi16ELi8ELi2ENS_8SequenceIJLi8ELi32ELi1EEEENSC_IJLi1ELi0ELi2EEEESE_Li2ELi8ELi8ELb0ELi0ENSC_IJLi2ELi128ELi1EEEESE_SE_Li2ELi16ELi16ELb0ELi0ELi1ELi1ENSC_IJLi1ELi16ELi1ELi16EEEELi4ELNS_26BlockGemmPipelineSchedulerE0ELNS_24BlockGemmPipelineVersionE2EDF16_DF16_Lb0ELb1EEELb1ELNS_25InMemoryDataOperationEnumE1ELi2ELNS_10TailNumberE10EEEvNT_8ArgumentE,"axG",@progbits,_ZN2ck27kernel_gemm_xdl_cshuffle_v3INS_28GridwiseGemm_xdl_cshuffle_v3INS_13tensor_layout4gemm8RowMajorENS3_11ColumnMajorES4_DF16_NS_7pk_i4_tEfDF16_DF16_NS_16tensor_operation12element_wise11PassThroughES9_S9_LNS7_6device18GemmSpecializationE0ELi256ELi1ELi128ELi128ELi128ELi64ELi8ELi16ELi16ELi16ELi8ELi2ENS_8SequenceIJLi8ELi32ELi1EEEENSC_IJLi1ELi0ELi2EEEESE_Li2ELi8ELi8ELb0ELi0ENSC_IJLi2ELi128ELi1EEEESE_SE_Li2ELi16ELi16ELb0ELi0ELi1ELi1ENSC_IJLi1ELi16ELi1ELi16EEEELi4ELNS_26BlockGemmPipelineSchedulerE0ELNS_24BlockGemmPipelineVersionE2EDF16_DF16_Lb0ELb1EEELb1ELNS_25InMemoryDataOperationEnumE1ELi2ELNS_10TailNumberE10EEEvNT_8ArgumentE,comdat
	.protected	_ZN2ck27kernel_gemm_xdl_cshuffle_v3INS_28GridwiseGemm_xdl_cshuffle_v3INS_13tensor_layout4gemm8RowMajorENS3_11ColumnMajorES4_DF16_NS_7pk_i4_tEfDF16_DF16_NS_16tensor_operation12element_wise11PassThroughES9_S9_LNS7_6device18GemmSpecializationE0ELi256ELi1ELi128ELi128ELi128ELi64ELi8ELi16ELi16ELi16ELi8ELi2ENS_8SequenceIJLi8ELi32ELi1EEEENSC_IJLi1ELi0ELi2EEEESE_Li2ELi8ELi8ELb0ELi0ENSC_IJLi2ELi128ELi1EEEESE_SE_Li2ELi16ELi16ELb0ELi0ELi1ELi1ENSC_IJLi1ELi16ELi1ELi16EEEELi4ELNS_26BlockGemmPipelineSchedulerE0ELNS_24BlockGemmPipelineVersionE2EDF16_DF16_Lb0ELb1EEELb1ELNS_25InMemoryDataOperationEnumE1ELi2ELNS_10TailNumberE10EEEvNT_8ArgumentE ; -- Begin function _ZN2ck27kernel_gemm_xdl_cshuffle_v3INS_28GridwiseGemm_xdl_cshuffle_v3INS_13tensor_layout4gemm8RowMajorENS3_11ColumnMajorES4_DF16_NS_7pk_i4_tEfDF16_DF16_NS_16tensor_operation12element_wise11PassThroughES9_S9_LNS7_6device18GemmSpecializationE0ELi256ELi1ELi128ELi128ELi128ELi64ELi8ELi16ELi16ELi16ELi8ELi2ENS_8SequenceIJLi8ELi32ELi1EEEENSC_IJLi1ELi0ELi2EEEESE_Li2ELi8ELi8ELb0ELi0ENSC_IJLi2ELi128ELi1EEEESE_SE_Li2ELi16ELi16ELb0ELi0ELi1ELi1ENSC_IJLi1ELi16ELi1ELi16EEEELi4ELNS_26BlockGemmPipelineSchedulerE0ELNS_24BlockGemmPipelineVersionE2EDF16_DF16_Lb0ELb1EEELb1ELNS_25InMemoryDataOperationEnumE1ELi2ELNS_10TailNumberE10EEEvNT_8ArgumentE
	.globl	_ZN2ck27kernel_gemm_xdl_cshuffle_v3INS_28GridwiseGemm_xdl_cshuffle_v3INS_13tensor_layout4gemm8RowMajorENS3_11ColumnMajorES4_DF16_NS_7pk_i4_tEfDF16_DF16_NS_16tensor_operation12element_wise11PassThroughES9_S9_LNS7_6device18GemmSpecializationE0ELi256ELi1ELi128ELi128ELi128ELi64ELi8ELi16ELi16ELi16ELi8ELi2ENS_8SequenceIJLi8ELi32ELi1EEEENSC_IJLi1ELi0ELi2EEEESE_Li2ELi8ELi8ELb0ELi0ENSC_IJLi2ELi128ELi1EEEESE_SE_Li2ELi16ELi16ELb0ELi0ELi1ELi1ENSC_IJLi1ELi16ELi1ELi16EEEELi4ELNS_26BlockGemmPipelineSchedulerE0ELNS_24BlockGemmPipelineVersionE2EDF16_DF16_Lb0ELb1EEELb1ELNS_25InMemoryDataOperationEnumE1ELi2ELNS_10TailNumberE10EEEvNT_8ArgumentE
	.p2align	8
	.type	_ZN2ck27kernel_gemm_xdl_cshuffle_v3INS_28GridwiseGemm_xdl_cshuffle_v3INS_13tensor_layout4gemm8RowMajorENS3_11ColumnMajorES4_DF16_NS_7pk_i4_tEfDF16_DF16_NS_16tensor_operation12element_wise11PassThroughES9_S9_LNS7_6device18GemmSpecializationE0ELi256ELi1ELi128ELi128ELi128ELi64ELi8ELi16ELi16ELi16ELi8ELi2ENS_8SequenceIJLi8ELi32ELi1EEEENSC_IJLi1ELi0ELi2EEEESE_Li2ELi8ELi8ELb0ELi0ENSC_IJLi2ELi128ELi1EEEESE_SE_Li2ELi16ELi16ELb0ELi0ELi1ELi1ENSC_IJLi1ELi16ELi1ELi16EEEELi4ELNS_26BlockGemmPipelineSchedulerE0ELNS_24BlockGemmPipelineVersionE2EDF16_DF16_Lb0ELb1EEELb1ELNS_25InMemoryDataOperationEnumE1ELi2ELNS_10TailNumberE10EEEvNT_8ArgumentE,@function
_ZN2ck27kernel_gemm_xdl_cshuffle_v3INS_28GridwiseGemm_xdl_cshuffle_v3INS_13tensor_layout4gemm8RowMajorENS3_11ColumnMajorES4_DF16_NS_7pk_i4_tEfDF16_DF16_NS_16tensor_operation12element_wise11PassThroughES9_S9_LNS7_6device18GemmSpecializationE0ELi256ELi1ELi128ELi128ELi128ELi64ELi8ELi16ELi16ELi16ELi8ELi2ENS_8SequenceIJLi8ELi32ELi1EEEENSC_IJLi1ELi0ELi2EEEESE_Li2ELi8ELi8ELb0ELi0ENSC_IJLi2ELi128ELi1EEEESE_SE_Li2ELi16ELi16ELb0ELi0ELi1ELi1ENSC_IJLi1ELi16ELi1ELi16EEEELi4ELNS_26BlockGemmPipelineSchedulerE0ELNS_24BlockGemmPipelineVersionE2EDF16_DF16_Lb0ELb1EEELb1ELNS_25InMemoryDataOperationEnumE1ELi2ELNS_10TailNumberE10EEEvNT_8ArgumentE: ; @_ZN2ck27kernel_gemm_xdl_cshuffle_v3INS_28GridwiseGemm_xdl_cshuffle_v3INS_13tensor_layout4gemm8RowMajorENS3_11ColumnMajorES4_DF16_NS_7pk_i4_tEfDF16_DF16_NS_16tensor_operation12element_wise11PassThroughES9_S9_LNS7_6device18GemmSpecializationE0ELi256ELi1ELi128ELi128ELi128ELi64ELi8ELi16ELi16ELi16ELi8ELi2ENS_8SequenceIJLi8ELi32ELi1EEEENSC_IJLi1ELi0ELi2EEEESE_Li2ELi8ELi8ELb0ELi0ENSC_IJLi2ELi128ELi1EEEESE_SE_Li2ELi16ELi16ELb0ELi0ELi1ELi1ENSC_IJLi1ELi16ELi1ELi16EEEELi4ELNS_26BlockGemmPipelineSchedulerE0ELNS_24BlockGemmPipelineVersionE2EDF16_DF16_Lb0ELb1EEELb1ELNS_25InMemoryDataOperationEnumE1ELi2ELNS_10TailNumberE10EEEvNT_8ArgumentE
; %bb.0:
	s_endpgm
	.section	.rodata,"a",@progbits
	.p2align	6, 0x0
	.amdhsa_kernel _ZN2ck27kernel_gemm_xdl_cshuffle_v3INS_28GridwiseGemm_xdl_cshuffle_v3INS_13tensor_layout4gemm8RowMajorENS3_11ColumnMajorES4_DF16_NS_7pk_i4_tEfDF16_DF16_NS_16tensor_operation12element_wise11PassThroughES9_S9_LNS7_6device18GemmSpecializationE0ELi256ELi1ELi128ELi128ELi128ELi64ELi8ELi16ELi16ELi16ELi8ELi2ENS_8SequenceIJLi8ELi32ELi1EEEENSC_IJLi1ELi0ELi2EEEESE_Li2ELi8ELi8ELb0ELi0ENSC_IJLi2ELi128ELi1EEEESE_SE_Li2ELi16ELi16ELb0ELi0ELi1ELi1ENSC_IJLi1ELi16ELi1ELi16EEEELi4ELNS_26BlockGemmPipelineSchedulerE0ELNS_24BlockGemmPipelineVersionE2EDF16_DF16_Lb0ELb1EEELb1ELNS_25InMemoryDataOperationEnumE1ELi2ELNS_10TailNumberE10EEEvNT_8ArgumentE
		.amdhsa_group_segment_fixed_size 0
		.amdhsa_private_segment_fixed_size 0
		.amdhsa_kernarg_size 120
		.amdhsa_user_sgpr_count 2
		.amdhsa_user_sgpr_dispatch_ptr 0
		.amdhsa_user_sgpr_queue_ptr 0
		.amdhsa_user_sgpr_kernarg_segment_ptr 1
		.amdhsa_user_sgpr_dispatch_id 0
		.amdhsa_user_sgpr_private_segment_size 0
		.amdhsa_wavefront_size32 1
		.amdhsa_uses_dynamic_stack 0
		.amdhsa_enable_private_segment 0
		.amdhsa_system_sgpr_workgroup_id_x 1
		.amdhsa_system_sgpr_workgroup_id_y 0
		.amdhsa_system_sgpr_workgroup_id_z 0
		.amdhsa_system_sgpr_workgroup_info 0
		.amdhsa_system_vgpr_workitem_id 0
		.amdhsa_next_free_vgpr 1
		.amdhsa_next_free_sgpr 1
		.amdhsa_reserve_vcc 0
		.amdhsa_float_round_mode_32 0
		.amdhsa_float_round_mode_16_64 0
		.amdhsa_float_denorm_mode_32 3
		.amdhsa_float_denorm_mode_16_64 3
		.amdhsa_fp16_overflow 0
		.amdhsa_workgroup_processor_mode 1
		.amdhsa_memory_ordered 1
		.amdhsa_forward_progress 1
		.amdhsa_inst_pref_size 1
		.amdhsa_round_robin_scheduling 0
		.amdhsa_exception_fp_ieee_invalid_op 0
		.amdhsa_exception_fp_denorm_src 0
		.amdhsa_exception_fp_ieee_div_zero 0
		.amdhsa_exception_fp_ieee_overflow 0
		.amdhsa_exception_fp_ieee_underflow 0
		.amdhsa_exception_fp_ieee_inexact 0
		.amdhsa_exception_int_div_zero 0
	.end_amdhsa_kernel
	.section	.text._ZN2ck27kernel_gemm_xdl_cshuffle_v3INS_28GridwiseGemm_xdl_cshuffle_v3INS_13tensor_layout4gemm8RowMajorENS3_11ColumnMajorES4_DF16_NS_7pk_i4_tEfDF16_DF16_NS_16tensor_operation12element_wise11PassThroughES9_S9_LNS7_6device18GemmSpecializationE0ELi256ELi1ELi128ELi128ELi128ELi64ELi8ELi16ELi16ELi16ELi8ELi2ENS_8SequenceIJLi8ELi32ELi1EEEENSC_IJLi1ELi0ELi2EEEESE_Li2ELi8ELi8ELb0ELi0ENSC_IJLi2ELi128ELi1EEEESE_SE_Li2ELi16ELi16ELb0ELi0ELi1ELi1ENSC_IJLi1ELi16ELi1ELi16EEEELi4ELNS_26BlockGemmPipelineSchedulerE0ELNS_24BlockGemmPipelineVersionE2EDF16_DF16_Lb0ELb1EEELb1ELNS_25InMemoryDataOperationEnumE1ELi2ELNS_10TailNumberE10EEEvNT_8ArgumentE,"axG",@progbits,_ZN2ck27kernel_gemm_xdl_cshuffle_v3INS_28GridwiseGemm_xdl_cshuffle_v3INS_13tensor_layout4gemm8RowMajorENS3_11ColumnMajorES4_DF16_NS_7pk_i4_tEfDF16_DF16_NS_16tensor_operation12element_wise11PassThroughES9_S9_LNS7_6device18GemmSpecializationE0ELi256ELi1ELi128ELi128ELi128ELi64ELi8ELi16ELi16ELi16ELi8ELi2ENS_8SequenceIJLi8ELi32ELi1EEEENSC_IJLi1ELi0ELi2EEEESE_Li2ELi8ELi8ELb0ELi0ENSC_IJLi2ELi128ELi1EEEESE_SE_Li2ELi16ELi16ELb0ELi0ELi1ELi1ENSC_IJLi1ELi16ELi1ELi16EEEELi4ELNS_26BlockGemmPipelineSchedulerE0ELNS_24BlockGemmPipelineVersionE2EDF16_DF16_Lb0ELb1EEELb1ELNS_25InMemoryDataOperationEnumE1ELi2ELNS_10TailNumberE10EEEvNT_8ArgumentE,comdat
.Lfunc_end1:
	.size	_ZN2ck27kernel_gemm_xdl_cshuffle_v3INS_28GridwiseGemm_xdl_cshuffle_v3INS_13tensor_layout4gemm8RowMajorENS3_11ColumnMajorES4_DF16_NS_7pk_i4_tEfDF16_DF16_NS_16tensor_operation12element_wise11PassThroughES9_S9_LNS7_6device18GemmSpecializationE0ELi256ELi1ELi128ELi128ELi128ELi64ELi8ELi16ELi16ELi16ELi8ELi2ENS_8SequenceIJLi8ELi32ELi1EEEENSC_IJLi1ELi0ELi2EEEESE_Li2ELi8ELi8ELb0ELi0ENSC_IJLi2ELi128ELi1EEEESE_SE_Li2ELi16ELi16ELb0ELi0ELi1ELi1ENSC_IJLi1ELi16ELi1ELi16EEEELi4ELNS_26BlockGemmPipelineSchedulerE0ELNS_24BlockGemmPipelineVersionE2EDF16_DF16_Lb0ELb1EEELb1ELNS_25InMemoryDataOperationEnumE1ELi2ELNS_10TailNumberE10EEEvNT_8ArgumentE, .Lfunc_end1-_ZN2ck27kernel_gemm_xdl_cshuffle_v3INS_28GridwiseGemm_xdl_cshuffle_v3INS_13tensor_layout4gemm8RowMajorENS3_11ColumnMajorES4_DF16_NS_7pk_i4_tEfDF16_DF16_NS_16tensor_operation12element_wise11PassThroughES9_S9_LNS7_6device18GemmSpecializationE0ELi256ELi1ELi128ELi128ELi128ELi64ELi8ELi16ELi16ELi16ELi8ELi2ENS_8SequenceIJLi8ELi32ELi1EEEENSC_IJLi1ELi0ELi2EEEESE_Li2ELi8ELi8ELb0ELi0ENSC_IJLi2ELi128ELi1EEEESE_SE_Li2ELi16ELi16ELb0ELi0ELi1ELi1ENSC_IJLi1ELi16ELi1ELi16EEEELi4ELNS_26BlockGemmPipelineSchedulerE0ELNS_24BlockGemmPipelineVersionE2EDF16_DF16_Lb0ELb1EEELb1ELNS_25InMemoryDataOperationEnumE1ELi2ELNS_10TailNumberE10EEEvNT_8ArgumentE
                                        ; -- End function
	.set _ZN2ck27kernel_gemm_xdl_cshuffle_v3INS_28GridwiseGemm_xdl_cshuffle_v3INS_13tensor_layout4gemm8RowMajorENS3_11ColumnMajorES4_DF16_NS_7pk_i4_tEfDF16_DF16_NS_16tensor_operation12element_wise11PassThroughES9_S9_LNS7_6device18GemmSpecializationE0ELi256ELi1ELi128ELi128ELi128ELi64ELi8ELi16ELi16ELi16ELi8ELi2ENS_8SequenceIJLi8ELi32ELi1EEEENSC_IJLi1ELi0ELi2EEEESE_Li2ELi8ELi8ELb0ELi0ENSC_IJLi2ELi128ELi1EEEESE_SE_Li2ELi16ELi16ELb0ELi0ELi1ELi1ENSC_IJLi1ELi16ELi1ELi16EEEELi4ELNS_26BlockGemmPipelineSchedulerE0ELNS_24BlockGemmPipelineVersionE2EDF16_DF16_Lb0ELb1EEELb1ELNS_25InMemoryDataOperationEnumE1ELi2ELNS_10TailNumberE10EEEvNT_8ArgumentE.num_vgpr, 0
	.set _ZN2ck27kernel_gemm_xdl_cshuffle_v3INS_28GridwiseGemm_xdl_cshuffle_v3INS_13tensor_layout4gemm8RowMajorENS3_11ColumnMajorES4_DF16_NS_7pk_i4_tEfDF16_DF16_NS_16tensor_operation12element_wise11PassThroughES9_S9_LNS7_6device18GemmSpecializationE0ELi256ELi1ELi128ELi128ELi128ELi64ELi8ELi16ELi16ELi16ELi8ELi2ENS_8SequenceIJLi8ELi32ELi1EEEENSC_IJLi1ELi0ELi2EEEESE_Li2ELi8ELi8ELb0ELi0ENSC_IJLi2ELi128ELi1EEEESE_SE_Li2ELi16ELi16ELb0ELi0ELi1ELi1ENSC_IJLi1ELi16ELi1ELi16EEEELi4ELNS_26BlockGemmPipelineSchedulerE0ELNS_24BlockGemmPipelineVersionE2EDF16_DF16_Lb0ELb1EEELb1ELNS_25InMemoryDataOperationEnumE1ELi2ELNS_10TailNumberE10EEEvNT_8ArgumentE.num_agpr, 0
	.set _ZN2ck27kernel_gemm_xdl_cshuffle_v3INS_28GridwiseGemm_xdl_cshuffle_v3INS_13tensor_layout4gemm8RowMajorENS3_11ColumnMajorES4_DF16_NS_7pk_i4_tEfDF16_DF16_NS_16tensor_operation12element_wise11PassThroughES9_S9_LNS7_6device18GemmSpecializationE0ELi256ELi1ELi128ELi128ELi128ELi64ELi8ELi16ELi16ELi16ELi8ELi2ENS_8SequenceIJLi8ELi32ELi1EEEENSC_IJLi1ELi0ELi2EEEESE_Li2ELi8ELi8ELb0ELi0ENSC_IJLi2ELi128ELi1EEEESE_SE_Li2ELi16ELi16ELb0ELi0ELi1ELi1ENSC_IJLi1ELi16ELi1ELi16EEEELi4ELNS_26BlockGemmPipelineSchedulerE0ELNS_24BlockGemmPipelineVersionE2EDF16_DF16_Lb0ELb1EEELb1ELNS_25InMemoryDataOperationEnumE1ELi2ELNS_10TailNumberE10EEEvNT_8ArgumentE.numbered_sgpr, 0
	.set _ZN2ck27kernel_gemm_xdl_cshuffle_v3INS_28GridwiseGemm_xdl_cshuffle_v3INS_13tensor_layout4gemm8RowMajorENS3_11ColumnMajorES4_DF16_NS_7pk_i4_tEfDF16_DF16_NS_16tensor_operation12element_wise11PassThroughES9_S9_LNS7_6device18GemmSpecializationE0ELi256ELi1ELi128ELi128ELi128ELi64ELi8ELi16ELi16ELi16ELi8ELi2ENS_8SequenceIJLi8ELi32ELi1EEEENSC_IJLi1ELi0ELi2EEEESE_Li2ELi8ELi8ELb0ELi0ENSC_IJLi2ELi128ELi1EEEESE_SE_Li2ELi16ELi16ELb0ELi0ELi1ELi1ENSC_IJLi1ELi16ELi1ELi16EEEELi4ELNS_26BlockGemmPipelineSchedulerE0ELNS_24BlockGemmPipelineVersionE2EDF16_DF16_Lb0ELb1EEELb1ELNS_25InMemoryDataOperationEnumE1ELi2ELNS_10TailNumberE10EEEvNT_8ArgumentE.num_named_barrier, 0
	.set _ZN2ck27kernel_gemm_xdl_cshuffle_v3INS_28GridwiseGemm_xdl_cshuffle_v3INS_13tensor_layout4gemm8RowMajorENS3_11ColumnMajorES4_DF16_NS_7pk_i4_tEfDF16_DF16_NS_16tensor_operation12element_wise11PassThroughES9_S9_LNS7_6device18GemmSpecializationE0ELi256ELi1ELi128ELi128ELi128ELi64ELi8ELi16ELi16ELi16ELi8ELi2ENS_8SequenceIJLi8ELi32ELi1EEEENSC_IJLi1ELi0ELi2EEEESE_Li2ELi8ELi8ELb0ELi0ENSC_IJLi2ELi128ELi1EEEESE_SE_Li2ELi16ELi16ELb0ELi0ELi1ELi1ENSC_IJLi1ELi16ELi1ELi16EEEELi4ELNS_26BlockGemmPipelineSchedulerE0ELNS_24BlockGemmPipelineVersionE2EDF16_DF16_Lb0ELb1EEELb1ELNS_25InMemoryDataOperationEnumE1ELi2ELNS_10TailNumberE10EEEvNT_8ArgumentE.private_seg_size, 0
	.set _ZN2ck27kernel_gemm_xdl_cshuffle_v3INS_28GridwiseGemm_xdl_cshuffle_v3INS_13tensor_layout4gemm8RowMajorENS3_11ColumnMajorES4_DF16_NS_7pk_i4_tEfDF16_DF16_NS_16tensor_operation12element_wise11PassThroughES9_S9_LNS7_6device18GemmSpecializationE0ELi256ELi1ELi128ELi128ELi128ELi64ELi8ELi16ELi16ELi16ELi8ELi2ENS_8SequenceIJLi8ELi32ELi1EEEENSC_IJLi1ELi0ELi2EEEESE_Li2ELi8ELi8ELb0ELi0ENSC_IJLi2ELi128ELi1EEEESE_SE_Li2ELi16ELi16ELb0ELi0ELi1ELi1ENSC_IJLi1ELi16ELi1ELi16EEEELi4ELNS_26BlockGemmPipelineSchedulerE0ELNS_24BlockGemmPipelineVersionE2EDF16_DF16_Lb0ELb1EEELb1ELNS_25InMemoryDataOperationEnumE1ELi2ELNS_10TailNumberE10EEEvNT_8ArgumentE.uses_vcc, 0
	.set _ZN2ck27kernel_gemm_xdl_cshuffle_v3INS_28GridwiseGemm_xdl_cshuffle_v3INS_13tensor_layout4gemm8RowMajorENS3_11ColumnMajorES4_DF16_NS_7pk_i4_tEfDF16_DF16_NS_16tensor_operation12element_wise11PassThroughES9_S9_LNS7_6device18GemmSpecializationE0ELi256ELi1ELi128ELi128ELi128ELi64ELi8ELi16ELi16ELi16ELi8ELi2ENS_8SequenceIJLi8ELi32ELi1EEEENSC_IJLi1ELi0ELi2EEEESE_Li2ELi8ELi8ELb0ELi0ENSC_IJLi2ELi128ELi1EEEESE_SE_Li2ELi16ELi16ELb0ELi0ELi1ELi1ENSC_IJLi1ELi16ELi1ELi16EEEELi4ELNS_26BlockGemmPipelineSchedulerE0ELNS_24BlockGemmPipelineVersionE2EDF16_DF16_Lb0ELb1EEELb1ELNS_25InMemoryDataOperationEnumE1ELi2ELNS_10TailNumberE10EEEvNT_8ArgumentE.uses_flat_scratch, 0
	.set _ZN2ck27kernel_gemm_xdl_cshuffle_v3INS_28GridwiseGemm_xdl_cshuffle_v3INS_13tensor_layout4gemm8RowMajorENS3_11ColumnMajorES4_DF16_NS_7pk_i4_tEfDF16_DF16_NS_16tensor_operation12element_wise11PassThroughES9_S9_LNS7_6device18GemmSpecializationE0ELi256ELi1ELi128ELi128ELi128ELi64ELi8ELi16ELi16ELi16ELi8ELi2ENS_8SequenceIJLi8ELi32ELi1EEEENSC_IJLi1ELi0ELi2EEEESE_Li2ELi8ELi8ELb0ELi0ENSC_IJLi2ELi128ELi1EEEESE_SE_Li2ELi16ELi16ELb0ELi0ELi1ELi1ENSC_IJLi1ELi16ELi1ELi16EEEELi4ELNS_26BlockGemmPipelineSchedulerE0ELNS_24BlockGemmPipelineVersionE2EDF16_DF16_Lb0ELb1EEELb1ELNS_25InMemoryDataOperationEnumE1ELi2ELNS_10TailNumberE10EEEvNT_8ArgumentE.has_dyn_sized_stack, 0
	.set _ZN2ck27kernel_gemm_xdl_cshuffle_v3INS_28GridwiseGemm_xdl_cshuffle_v3INS_13tensor_layout4gemm8RowMajorENS3_11ColumnMajorES4_DF16_NS_7pk_i4_tEfDF16_DF16_NS_16tensor_operation12element_wise11PassThroughES9_S9_LNS7_6device18GemmSpecializationE0ELi256ELi1ELi128ELi128ELi128ELi64ELi8ELi16ELi16ELi16ELi8ELi2ENS_8SequenceIJLi8ELi32ELi1EEEENSC_IJLi1ELi0ELi2EEEESE_Li2ELi8ELi8ELb0ELi0ENSC_IJLi2ELi128ELi1EEEESE_SE_Li2ELi16ELi16ELb0ELi0ELi1ELi1ENSC_IJLi1ELi16ELi1ELi16EEEELi4ELNS_26BlockGemmPipelineSchedulerE0ELNS_24BlockGemmPipelineVersionE2EDF16_DF16_Lb0ELb1EEELb1ELNS_25InMemoryDataOperationEnumE1ELi2ELNS_10TailNumberE10EEEvNT_8ArgumentE.has_recursion, 0
	.set _ZN2ck27kernel_gemm_xdl_cshuffle_v3INS_28GridwiseGemm_xdl_cshuffle_v3INS_13tensor_layout4gemm8RowMajorENS3_11ColumnMajorES4_DF16_NS_7pk_i4_tEfDF16_DF16_NS_16tensor_operation12element_wise11PassThroughES9_S9_LNS7_6device18GemmSpecializationE0ELi256ELi1ELi128ELi128ELi128ELi64ELi8ELi16ELi16ELi16ELi8ELi2ENS_8SequenceIJLi8ELi32ELi1EEEENSC_IJLi1ELi0ELi2EEEESE_Li2ELi8ELi8ELb0ELi0ENSC_IJLi2ELi128ELi1EEEESE_SE_Li2ELi16ELi16ELb0ELi0ELi1ELi1ENSC_IJLi1ELi16ELi1ELi16EEEELi4ELNS_26BlockGemmPipelineSchedulerE0ELNS_24BlockGemmPipelineVersionE2EDF16_DF16_Lb0ELb1EEELb1ELNS_25InMemoryDataOperationEnumE1ELi2ELNS_10TailNumberE10EEEvNT_8ArgumentE.has_indirect_call, 0
	.section	.AMDGPU.csdata,"",@progbits
; Kernel info:
; codeLenInByte = 4
; TotalNumSgprs: 0
; NumVgprs: 0
; ScratchSize: 0
; MemoryBound: 0
; FloatMode: 240
; IeeeMode: 1
; LDSByteSize: 0 bytes/workgroup (compile time only)
; SGPRBlocks: 0
; VGPRBlocks: 0
; NumSGPRsForWavesPerEU: 1
; NumVGPRsForWavesPerEU: 1
; Occupancy: 16
; WaveLimiterHint : 0
; COMPUTE_PGM_RSRC2:SCRATCH_EN: 0
; COMPUTE_PGM_RSRC2:USER_SGPR: 2
; COMPUTE_PGM_RSRC2:TRAP_HANDLER: 0
; COMPUTE_PGM_RSRC2:TGID_X_EN: 1
; COMPUTE_PGM_RSRC2:TGID_Y_EN: 0
; COMPUTE_PGM_RSRC2:TGID_Z_EN: 0
; COMPUTE_PGM_RSRC2:TIDIG_COMP_CNT: 0
	.section	.text._ZN2ck27kernel_gemm_xdl_cshuffle_v3INS_28GridwiseGemm_xdl_cshuffle_v3INS_13tensor_layout4gemm8RowMajorENS3_11ColumnMajorES4_DF16_NS_7pk_i4_tEfDF16_DF16_NS_16tensor_operation12element_wise11PassThroughES9_S9_LNS7_6device18GemmSpecializationE0ELi256ELi1ELi128ELi128ELi128ELi64ELi8ELi16ELi16ELi16ELi8ELi2ENS_8SequenceIJLi8ELi32ELi1EEEENSC_IJLi1ELi0ELi2EEEESE_Li2ELi8ELi8ELb0ELi0ENSC_IJLi2ELi128ELi1EEEESE_SE_Li2ELi16ELi16ELb0ELi0ELi1ELi1ENSC_IJLi1ELi16ELi1ELi16EEEELi4ELNS_26BlockGemmPipelineSchedulerE0ELNS_24BlockGemmPipelineVersionE2EDF16_DF16_Lb0ELb1EEELb1ELNS_25InMemoryDataOperationEnumE0ELi2ELNS_10TailNumberE10EEEvNT_8ArgumentE,"axG",@progbits,_ZN2ck27kernel_gemm_xdl_cshuffle_v3INS_28GridwiseGemm_xdl_cshuffle_v3INS_13tensor_layout4gemm8RowMajorENS3_11ColumnMajorES4_DF16_NS_7pk_i4_tEfDF16_DF16_NS_16tensor_operation12element_wise11PassThroughES9_S9_LNS7_6device18GemmSpecializationE0ELi256ELi1ELi128ELi128ELi128ELi64ELi8ELi16ELi16ELi16ELi8ELi2ENS_8SequenceIJLi8ELi32ELi1EEEENSC_IJLi1ELi0ELi2EEEESE_Li2ELi8ELi8ELb0ELi0ENSC_IJLi2ELi128ELi1EEEESE_SE_Li2ELi16ELi16ELb0ELi0ELi1ELi1ENSC_IJLi1ELi16ELi1ELi16EEEELi4ELNS_26BlockGemmPipelineSchedulerE0ELNS_24BlockGemmPipelineVersionE2EDF16_DF16_Lb0ELb1EEELb1ELNS_25InMemoryDataOperationEnumE0ELi2ELNS_10TailNumberE10EEEvNT_8ArgumentE,comdat
	.protected	_ZN2ck27kernel_gemm_xdl_cshuffle_v3INS_28GridwiseGemm_xdl_cshuffle_v3INS_13tensor_layout4gemm8RowMajorENS3_11ColumnMajorES4_DF16_NS_7pk_i4_tEfDF16_DF16_NS_16tensor_operation12element_wise11PassThroughES9_S9_LNS7_6device18GemmSpecializationE0ELi256ELi1ELi128ELi128ELi128ELi64ELi8ELi16ELi16ELi16ELi8ELi2ENS_8SequenceIJLi8ELi32ELi1EEEENSC_IJLi1ELi0ELi2EEEESE_Li2ELi8ELi8ELb0ELi0ENSC_IJLi2ELi128ELi1EEEESE_SE_Li2ELi16ELi16ELb0ELi0ELi1ELi1ENSC_IJLi1ELi16ELi1ELi16EEEELi4ELNS_26BlockGemmPipelineSchedulerE0ELNS_24BlockGemmPipelineVersionE2EDF16_DF16_Lb0ELb1EEELb1ELNS_25InMemoryDataOperationEnumE0ELi2ELNS_10TailNumberE10EEEvNT_8ArgumentE ; -- Begin function _ZN2ck27kernel_gemm_xdl_cshuffle_v3INS_28GridwiseGemm_xdl_cshuffle_v3INS_13tensor_layout4gemm8RowMajorENS3_11ColumnMajorES4_DF16_NS_7pk_i4_tEfDF16_DF16_NS_16tensor_operation12element_wise11PassThroughES9_S9_LNS7_6device18GemmSpecializationE0ELi256ELi1ELi128ELi128ELi128ELi64ELi8ELi16ELi16ELi16ELi8ELi2ENS_8SequenceIJLi8ELi32ELi1EEEENSC_IJLi1ELi0ELi2EEEESE_Li2ELi8ELi8ELb0ELi0ENSC_IJLi2ELi128ELi1EEEESE_SE_Li2ELi16ELi16ELb0ELi0ELi1ELi1ENSC_IJLi1ELi16ELi1ELi16EEEELi4ELNS_26BlockGemmPipelineSchedulerE0ELNS_24BlockGemmPipelineVersionE2EDF16_DF16_Lb0ELb1EEELb1ELNS_25InMemoryDataOperationEnumE0ELi2ELNS_10TailNumberE10EEEvNT_8ArgumentE
	.globl	_ZN2ck27kernel_gemm_xdl_cshuffle_v3INS_28GridwiseGemm_xdl_cshuffle_v3INS_13tensor_layout4gemm8RowMajorENS3_11ColumnMajorES4_DF16_NS_7pk_i4_tEfDF16_DF16_NS_16tensor_operation12element_wise11PassThroughES9_S9_LNS7_6device18GemmSpecializationE0ELi256ELi1ELi128ELi128ELi128ELi64ELi8ELi16ELi16ELi16ELi8ELi2ENS_8SequenceIJLi8ELi32ELi1EEEENSC_IJLi1ELi0ELi2EEEESE_Li2ELi8ELi8ELb0ELi0ENSC_IJLi2ELi128ELi1EEEESE_SE_Li2ELi16ELi16ELb0ELi0ELi1ELi1ENSC_IJLi1ELi16ELi1ELi16EEEELi4ELNS_26BlockGemmPipelineSchedulerE0ELNS_24BlockGemmPipelineVersionE2EDF16_DF16_Lb0ELb1EEELb1ELNS_25InMemoryDataOperationEnumE0ELi2ELNS_10TailNumberE10EEEvNT_8ArgumentE
	.p2align	8
	.type	_ZN2ck27kernel_gemm_xdl_cshuffle_v3INS_28GridwiseGemm_xdl_cshuffle_v3INS_13tensor_layout4gemm8RowMajorENS3_11ColumnMajorES4_DF16_NS_7pk_i4_tEfDF16_DF16_NS_16tensor_operation12element_wise11PassThroughES9_S9_LNS7_6device18GemmSpecializationE0ELi256ELi1ELi128ELi128ELi128ELi64ELi8ELi16ELi16ELi16ELi8ELi2ENS_8SequenceIJLi8ELi32ELi1EEEENSC_IJLi1ELi0ELi2EEEESE_Li2ELi8ELi8ELb0ELi0ENSC_IJLi2ELi128ELi1EEEESE_SE_Li2ELi16ELi16ELb0ELi0ELi1ELi1ENSC_IJLi1ELi16ELi1ELi16EEEELi4ELNS_26BlockGemmPipelineSchedulerE0ELNS_24BlockGemmPipelineVersionE2EDF16_DF16_Lb0ELb1EEELb1ELNS_25InMemoryDataOperationEnumE0ELi2ELNS_10TailNumberE10EEEvNT_8ArgumentE,@function
_ZN2ck27kernel_gemm_xdl_cshuffle_v3INS_28GridwiseGemm_xdl_cshuffle_v3INS_13tensor_layout4gemm8RowMajorENS3_11ColumnMajorES4_DF16_NS_7pk_i4_tEfDF16_DF16_NS_16tensor_operation12element_wise11PassThroughES9_S9_LNS7_6device18GemmSpecializationE0ELi256ELi1ELi128ELi128ELi128ELi64ELi8ELi16ELi16ELi16ELi8ELi2ENS_8SequenceIJLi8ELi32ELi1EEEENSC_IJLi1ELi0ELi2EEEESE_Li2ELi8ELi8ELb0ELi0ENSC_IJLi2ELi128ELi1EEEESE_SE_Li2ELi16ELi16ELb0ELi0ELi1ELi1ENSC_IJLi1ELi16ELi1ELi16EEEELi4ELNS_26BlockGemmPipelineSchedulerE0ELNS_24BlockGemmPipelineVersionE2EDF16_DF16_Lb0ELb1EEELb1ELNS_25InMemoryDataOperationEnumE0ELi2ELNS_10TailNumberE10EEEvNT_8ArgumentE: ; @_ZN2ck27kernel_gemm_xdl_cshuffle_v3INS_28GridwiseGemm_xdl_cshuffle_v3INS_13tensor_layout4gemm8RowMajorENS3_11ColumnMajorES4_DF16_NS_7pk_i4_tEfDF16_DF16_NS_16tensor_operation12element_wise11PassThroughES9_S9_LNS7_6device18GemmSpecializationE0ELi256ELi1ELi128ELi128ELi128ELi64ELi8ELi16ELi16ELi16ELi8ELi2ENS_8SequenceIJLi8ELi32ELi1EEEENSC_IJLi1ELi0ELi2EEEESE_Li2ELi8ELi8ELb0ELi0ENSC_IJLi2ELi128ELi1EEEESE_SE_Li2ELi16ELi16ELb0ELi0ELi1ELi1ENSC_IJLi1ELi16ELi1ELi16EEEELi4ELNS_26BlockGemmPipelineSchedulerE0ELNS_24BlockGemmPipelineVersionE2EDF16_DF16_Lb0ELb1EEELb1ELNS_25InMemoryDataOperationEnumE0ELi2ELNS_10TailNumberE10EEEvNT_8ArgumentE
; %bb.0:
	s_endpgm
	.section	.rodata,"a",@progbits
	.p2align	6, 0x0
	.amdhsa_kernel _ZN2ck27kernel_gemm_xdl_cshuffle_v3INS_28GridwiseGemm_xdl_cshuffle_v3INS_13tensor_layout4gemm8RowMajorENS3_11ColumnMajorES4_DF16_NS_7pk_i4_tEfDF16_DF16_NS_16tensor_operation12element_wise11PassThroughES9_S9_LNS7_6device18GemmSpecializationE0ELi256ELi1ELi128ELi128ELi128ELi64ELi8ELi16ELi16ELi16ELi8ELi2ENS_8SequenceIJLi8ELi32ELi1EEEENSC_IJLi1ELi0ELi2EEEESE_Li2ELi8ELi8ELb0ELi0ENSC_IJLi2ELi128ELi1EEEESE_SE_Li2ELi16ELi16ELb0ELi0ELi1ELi1ENSC_IJLi1ELi16ELi1ELi16EEEELi4ELNS_26BlockGemmPipelineSchedulerE0ELNS_24BlockGemmPipelineVersionE2EDF16_DF16_Lb0ELb1EEELb1ELNS_25InMemoryDataOperationEnumE0ELi2ELNS_10TailNumberE10EEEvNT_8ArgumentE
		.amdhsa_group_segment_fixed_size 0
		.amdhsa_private_segment_fixed_size 0
		.amdhsa_kernarg_size 120
		.amdhsa_user_sgpr_count 2
		.amdhsa_user_sgpr_dispatch_ptr 0
		.amdhsa_user_sgpr_queue_ptr 0
		.amdhsa_user_sgpr_kernarg_segment_ptr 1
		.amdhsa_user_sgpr_dispatch_id 0
		.amdhsa_user_sgpr_private_segment_size 0
		.amdhsa_wavefront_size32 1
		.amdhsa_uses_dynamic_stack 0
		.amdhsa_enable_private_segment 0
		.amdhsa_system_sgpr_workgroup_id_x 1
		.amdhsa_system_sgpr_workgroup_id_y 0
		.amdhsa_system_sgpr_workgroup_id_z 0
		.amdhsa_system_sgpr_workgroup_info 0
		.amdhsa_system_vgpr_workitem_id 0
		.amdhsa_next_free_vgpr 1
		.amdhsa_next_free_sgpr 1
		.amdhsa_reserve_vcc 0
		.amdhsa_float_round_mode_32 0
		.amdhsa_float_round_mode_16_64 0
		.amdhsa_float_denorm_mode_32 3
		.amdhsa_float_denorm_mode_16_64 3
		.amdhsa_fp16_overflow 0
		.amdhsa_workgroup_processor_mode 1
		.amdhsa_memory_ordered 1
		.amdhsa_forward_progress 1
		.amdhsa_inst_pref_size 1
		.amdhsa_round_robin_scheduling 0
		.amdhsa_exception_fp_ieee_invalid_op 0
		.amdhsa_exception_fp_denorm_src 0
		.amdhsa_exception_fp_ieee_div_zero 0
		.amdhsa_exception_fp_ieee_overflow 0
		.amdhsa_exception_fp_ieee_underflow 0
		.amdhsa_exception_fp_ieee_inexact 0
		.amdhsa_exception_int_div_zero 0
	.end_amdhsa_kernel
	.section	.text._ZN2ck27kernel_gemm_xdl_cshuffle_v3INS_28GridwiseGemm_xdl_cshuffle_v3INS_13tensor_layout4gemm8RowMajorENS3_11ColumnMajorES4_DF16_NS_7pk_i4_tEfDF16_DF16_NS_16tensor_operation12element_wise11PassThroughES9_S9_LNS7_6device18GemmSpecializationE0ELi256ELi1ELi128ELi128ELi128ELi64ELi8ELi16ELi16ELi16ELi8ELi2ENS_8SequenceIJLi8ELi32ELi1EEEENSC_IJLi1ELi0ELi2EEEESE_Li2ELi8ELi8ELb0ELi0ENSC_IJLi2ELi128ELi1EEEESE_SE_Li2ELi16ELi16ELb0ELi0ELi1ELi1ENSC_IJLi1ELi16ELi1ELi16EEEELi4ELNS_26BlockGemmPipelineSchedulerE0ELNS_24BlockGemmPipelineVersionE2EDF16_DF16_Lb0ELb1EEELb1ELNS_25InMemoryDataOperationEnumE0ELi2ELNS_10TailNumberE10EEEvNT_8ArgumentE,"axG",@progbits,_ZN2ck27kernel_gemm_xdl_cshuffle_v3INS_28GridwiseGemm_xdl_cshuffle_v3INS_13tensor_layout4gemm8RowMajorENS3_11ColumnMajorES4_DF16_NS_7pk_i4_tEfDF16_DF16_NS_16tensor_operation12element_wise11PassThroughES9_S9_LNS7_6device18GemmSpecializationE0ELi256ELi1ELi128ELi128ELi128ELi64ELi8ELi16ELi16ELi16ELi8ELi2ENS_8SequenceIJLi8ELi32ELi1EEEENSC_IJLi1ELi0ELi2EEEESE_Li2ELi8ELi8ELb0ELi0ENSC_IJLi2ELi128ELi1EEEESE_SE_Li2ELi16ELi16ELb0ELi0ELi1ELi1ENSC_IJLi1ELi16ELi1ELi16EEEELi4ELNS_26BlockGemmPipelineSchedulerE0ELNS_24BlockGemmPipelineVersionE2EDF16_DF16_Lb0ELb1EEELb1ELNS_25InMemoryDataOperationEnumE0ELi2ELNS_10TailNumberE10EEEvNT_8ArgumentE,comdat
.Lfunc_end2:
	.size	_ZN2ck27kernel_gemm_xdl_cshuffle_v3INS_28GridwiseGemm_xdl_cshuffle_v3INS_13tensor_layout4gemm8RowMajorENS3_11ColumnMajorES4_DF16_NS_7pk_i4_tEfDF16_DF16_NS_16tensor_operation12element_wise11PassThroughES9_S9_LNS7_6device18GemmSpecializationE0ELi256ELi1ELi128ELi128ELi128ELi64ELi8ELi16ELi16ELi16ELi8ELi2ENS_8SequenceIJLi8ELi32ELi1EEEENSC_IJLi1ELi0ELi2EEEESE_Li2ELi8ELi8ELb0ELi0ENSC_IJLi2ELi128ELi1EEEESE_SE_Li2ELi16ELi16ELb0ELi0ELi1ELi1ENSC_IJLi1ELi16ELi1ELi16EEEELi4ELNS_26BlockGemmPipelineSchedulerE0ELNS_24BlockGemmPipelineVersionE2EDF16_DF16_Lb0ELb1EEELb1ELNS_25InMemoryDataOperationEnumE0ELi2ELNS_10TailNumberE10EEEvNT_8ArgumentE, .Lfunc_end2-_ZN2ck27kernel_gemm_xdl_cshuffle_v3INS_28GridwiseGemm_xdl_cshuffle_v3INS_13tensor_layout4gemm8RowMajorENS3_11ColumnMajorES4_DF16_NS_7pk_i4_tEfDF16_DF16_NS_16tensor_operation12element_wise11PassThroughES9_S9_LNS7_6device18GemmSpecializationE0ELi256ELi1ELi128ELi128ELi128ELi64ELi8ELi16ELi16ELi16ELi8ELi2ENS_8SequenceIJLi8ELi32ELi1EEEENSC_IJLi1ELi0ELi2EEEESE_Li2ELi8ELi8ELb0ELi0ENSC_IJLi2ELi128ELi1EEEESE_SE_Li2ELi16ELi16ELb0ELi0ELi1ELi1ENSC_IJLi1ELi16ELi1ELi16EEEELi4ELNS_26BlockGemmPipelineSchedulerE0ELNS_24BlockGemmPipelineVersionE2EDF16_DF16_Lb0ELb1EEELb1ELNS_25InMemoryDataOperationEnumE0ELi2ELNS_10TailNumberE10EEEvNT_8ArgumentE
                                        ; -- End function
	.set _ZN2ck27kernel_gemm_xdl_cshuffle_v3INS_28GridwiseGemm_xdl_cshuffle_v3INS_13tensor_layout4gemm8RowMajorENS3_11ColumnMajorES4_DF16_NS_7pk_i4_tEfDF16_DF16_NS_16tensor_operation12element_wise11PassThroughES9_S9_LNS7_6device18GemmSpecializationE0ELi256ELi1ELi128ELi128ELi128ELi64ELi8ELi16ELi16ELi16ELi8ELi2ENS_8SequenceIJLi8ELi32ELi1EEEENSC_IJLi1ELi0ELi2EEEESE_Li2ELi8ELi8ELb0ELi0ENSC_IJLi2ELi128ELi1EEEESE_SE_Li2ELi16ELi16ELb0ELi0ELi1ELi1ENSC_IJLi1ELi16ELi1ELi16EEEELi4ELNS_26BlockGemmPipelineSchedulerE0ELNS_24BlockGemmPipelineVersionE2EDF16_DF16_Lb0ELb1EEELb1ELNS_25InMemoryDataOperationEnumE0ELi2ELNS_10TailNumberE10EEEvNT_8ArgumentE.num_vgpr, 0
	.set _ZN2ck27kernel_gemm_xdl_cshuffle_v3INS_28GridwiseGemm_xdl_cshuffle_v3INS_13tensor_layout4gemm8RowMajorENS3_11ColumnMajorES4_DF16_NS_7pk_i4_tEfDF16_DF16_NS_16tensor_operation12element_wise11PassThroughES9_S9_LNS7_6device18GemmSpecializationE0ELi256ELi1ELi128ELi128ELi128ELi64ELi8ELi16ELi16ELi16ELi8ELi2ENS_8SequenceIJLi8ELi32ELi1EEEENSC_IJLi1ELi0ELi2EEEESE_Li2ELi8ELi8ELb0ELi0ENSC_IJLi2ELi128ELi1EEEESE_SE_Li2ELi16ELi16ELb0ELi0ELi1ELi1ENSC_IJLi1ELi16ELi1ELi16EEEELi4ELNS_26BlockGemmPipelineSchedulerE0ELNS_24BlockGemmPipelineVersionE2EDF16_DF16_Lb0ELb1EEELb1ELNS_25InMemoryDataOperationEnumE0ELi2ELNS_10TailNumberE10EEEvNT_8ArgumentE.num_agpr, 0
	.set _ZN2ck27kernel_gemm_xdl_cshuffle_v3INS_28GridwiseGemm_xdl_cshuffle_v3INS_13tensor_layout4gemm8RowMajorENS3_11ColumnMajorES4_DF16_NS_7pk_i4_tEfDF16_DF16_NS_16tensor_operation12element_wise11PassThroughES9_S9_LNS7_6device18GemmSpecializationE0ELi256ELi1ELi128ELi128ELi128ELi64ELi8ELi16ELi16ELi16ELi8ELi2ENS_8SequenceIJLi8ELi32ELi1EEEENSC_IJLi1ELi0ELi2EEEESE_Li2ELi8ELi8ELb0ELi0ENSC_IJLi2ELi128ELi1EEEESE_SE_Li2ELi16ELi16ELb0ELi0ELi1ELi1ENSC_IJLi1ELi16ELi1ELi16EEEELi4ELNS_26BlockGemmPipelineSchedulerE0ELNS_24BlockGemmPipelineVersionE2EDF16_DF16_Lb0ELb1EEELb1ELNS_25InMemoryDataOperationEnumE0ELi2ELNS_10TailNumberE10EEEvNT_8ArgumentE.numbered_sgpr, 0
	.set _ZN2ck27kernel_gemm_xdl_cshuffle_v3INS_28GridwiseGemm_xdl_cshuffle_v3INS_13tensor_layout4gemm8RowMajorENS3_11ColumnMajorES4_DF16_NS_7pk_i4_tEfDF16_DF16_NS_16tensor_operation12element_wise11PassThroughES9_S9_LNS7_6device18GemmSpecializationE0ELi256ELi1ELi128ELi128ELi128ELi64ELi8ELi16ELi16ELi16ELi8ELi2ENS_8SequenceIJLi8ELi32ELi1EEEENSC_IJLi1ELi0ELi2EEEESE_Li2ELi8ELi8ELb0ELi0ENSC_IJLi2ELi128ELi1EEEESE_SE_Li2ELi16ELi16ELb0ELi0ELi1ELi1ENSC_IJLi1ELi16ELi1ELi16EEEELi4ELNS_26BlockGemmPipelineSchedulerE0ELNS_24BlockGemmPipelineVersionE2EDF16_DF16_Lb0ELb1EEELb1ELNS_25InMemoryDataOperationEnumE0ELi2ELNS_10TailNumberE10EEEvNT_8ArgumentE.num_named_barrier, 0
	.set _ZN2ck27kernel_gemm_xdl_cshuffle_v3INS_28GridwiseGemm_xdl_cshuffle_v3INS_13tensor_layout4gemm8RowMajorENS3_11ColumnMajorES4_DF16_NS_7pk_i4_tEfDF16_DF16_NS_16tensor_operation12element_wise11PassThroughES9_S9_LNS7_6device18GemmSpecializationE0ELi256ELi1ELi128ELi128ELi128ELi64ELi8ELi16ELi16ELi16ELi8ELi2ENS_8SequenceIJLi8ELi32ELi1EEEENSC_IJLi1ELi0ELi2EEEESE_Li2ELi8ELi8ELb0ELi0ENSC_IJLi2ELi128ELi1EEEESE_SE_Li2ELi16ELi16ELb0ELi0ELi1ELi1ENSC_IJLi1ELi16ELi1ELi16EEEELi4ELNS_26BlockGemmPipelineSchedulerE0ELNS_24BlockGemmPipelineVersionE2EDF16_DF16_Lb0ELb1EEELb1ELNS_25InMemoryDataOperationEnumE0ELi2ELNS_10TailNumberE10EEEvNT_8ArgumentE.private_seg_size, 0
	.set _ZN2ck27kernel_gemm_xdl_cshuffle_v3INS_28GridwiseGemm_xdl_cshuffle_v3INS_13tensor_layout4gemm8RowMajorENS3_11ColumnMajorES4_DF16_NS_7pk_i4_tEfDF16_DF16_NS_16tensor_operation12element_wise11PassThroughES9_S9_LNS7_6device18GemmSpecializationE0ELi256ELi1ELi128ELi128ELi128ELi64ELi8ELi16ELi16ELi16ELi8ELi2ENS_8SequenceIJLi8ELi32ELi1EEEENSC_IJLi1ELi0ELi2EEEESE_Li2ELi8ELi8ELb0ELi0ENSC_IJLi2ELi128ELi1EEEESE_SE_Li2ELi16ELi16ELb0ELi0ELi1ELi1ENSC_IJLi1ELi16ELi1ELi16EEEELi4ELNS_26BlockGemmPipelineSchedulerE0ELNS_24BlockGemmPipelineVersionE2EDF16_DF16_Lb0ELb1EEELb1ELNS_25InMemoryDataOperationEnumE0ELi2ELNS_10TailNumberE10EEEvNT_8ArgumentE.uses_vcc, 0
	.set _ZN2ck27kernel_gemm_xdl_cshuffle_v3INS_28GridwiseGemm_xdl_cshuffle_v3INS_13tensor_layout4gemm8RowMajorENS3_11ColumnMajorES4_DF16_NS_7pk_i4_tEfDF16_DF16_NS_16tensor_operation12element_wise11PassThroughES9_S9_LNS7_6device18GemmSpecializationE0ELi256ELi1ELi128ELi128ELi128ELi64ELi8ELi16ELi16ELi16ELi8ELi2ENS_8SequenceIJLi8ELi32ELi1EEEENSC_IJLi1ELi0ELi2EEEESE_Li2ELi8ELi8ELb0ELi0ENSC_IJLi2ELi128ELi1EEEESE_SE_Li2ELi16ELi16ELb0ELi0ELi1ELi1ENSC_IJLi1ELi16ELi1ELi16EEEELi4ELNS_26BlockGemmPipelineSchedulerE0ELNS_24BlockGemmPipelineVersionE2EDF16_DF16_Lb0ELb1EEELb1ELNS_25InMemoryDataOperationEnumE0ELi2ELNS_10TailNumberE10EEEvNT_8ArgumentE.uses_flat_scratch, 0
	.set _ZN2ck27kernel_gemm_xdl_cshuffle_v3INS_28GridwiseGemm_xdl_cshuffle_v3INS_13tensor_layout4gemm8RowMajorENS3_11ColumnMajorES4_DF16_NS_7pk_i4_tEfDF16_DF16_NS_16tensor_operation12element_wise11PassThroughES9_S9_LNS7_6device18GemmSpecializationE0ELi256ELi1ELi128ELi128ELi128ELi64ELi8ELi16ELi16ELi16ELi8ELi2ENS_8SequenceIJLi8ELi32ELi1EEEENSC_IJLi1ELi0ELi2EEEESE_Li2ELi8ELi8ELb0ELi0ENSC_IJLi2ELi128ELi1EEEESE_SE_Li2ELi16ELi16ELb0ELi0ELi1ELi1ENSC_IJLi1ELi16ELi1ELi16EEEELi4ELNS_26BlockGemmPipelineSchedulerE0ELNS_24BlockGemmPipelineVersionE2EDF16_DF16_Lb0ELb1EEELb1ELNS_25InMemoryDataOperationEnumE0ELi2ELNS_10TailNumberE10EEEvNT_8ArgumentE.has_dyn_sized_stack, 0
	.set _ZN2ck27kernel_gemm_xdl_cshuffle_v3INS_28GridwiseGemm_xdl_cshuffle_v3INS_13tensor_layout4gemm8RowMajorENS3_11ColumnMajorES4_DF16_NS_7pk_i4_tEfDF16_DF16_NS_16tensor_operation12element_wise11PassThroughES9_S9_LNS7_6device18GemmSpecializationE0ELi256ELi1ELi128ELi128ELi128ELi64ELi8ELi16ELi16ELi16ELi8ELi2ENS_8SequenceIJLi8ELi32ELi1EEEENSC_IJLi1ELi0ELi2EEEESE_Li2ELi8ELi8ELb0ELi0ENSC_IJLi2ELi128ELi1EEEESE_SE_Li2ELi16ELi16ELb0ELi0ELi1ELi1ENSC_IJLi1ELi16ELi1ELi16EEEELi4ELNS_26BlockGemmPipelineSchedulerE0ELNS_24BlockGemmPipelineVersionE2EDF16_DF16_Lb0ELb1EEELb1ELNS_25InMemoryDataOperationEnumE0ELi2ELNS_10TailNumberE10EEEvNT_8ArgumentE.has_recursion, 0
	.set _ZN2ck27kernel_gemm_xdl_cshuffle_v3INS_28GridwiseGemm_xdl_cshuffle_v3INS_13tensor_layout4gemm8RowMajorENS3_11ColumnMajorES4_DF16_NS_7pk_i4_tEfDF16_DF16_NS_16tensor_operation12element_wise11PassThroughES9_S9_LNS7_6device18GemmSpecializationE0ELi256ELi1ELi128ELi128ELi128ELi64ELi8ELi16ELi16ELi16ELi8ELi2ENS_8SequenceIJLi8ELi32ELi1EEEENSC_IJLi1ELi0ELi2EEEESE_Li2ELi8ELi8ELb0ELi0ENSC_IJLi2ELi128ELi1EEEESE_SE_Li2ELi16ELi16ELb0ELi0ELi1ELi1ENSC_IJLi1ELi16ELi1ELi16EEEELi4ELNS_26BlockGemmPipelineSchedulerE0ELNS_24BlockGemmPipelineVersionE2EDF16_DF16_Lb0ELb1EEELb1ELNS_25InMemoryDataOperationEnumE0ELi2ELNS_10TailNumberE10EEEvNT_8ArgumentE.has_indirect_call, 0
	.section	.AMDGPU.csdata,"",@progbits
; Kernel info:
; codeLenInByte = 4
; TotalNumSgprs: 0
; NumVgprs: 0
; ScratchSize: 0
; MemoryBound: 0
; FloatMode: 240
; IeeeMode: 1
; LDSByteSize: 0 bytes/workgroup (compile time only)
; SGPRBlocks: 0
; VGPRBlocks: 0
; NumSGPRsForWavesPerEU: 1
; NumVGPRsForWavesPerEU: 1
; Occupancy: 16
; WaveLimiterHint : 0
; COMPUTE_PGM_RSRC2:SCRATCH_EN: 0
; COMPUTE_PGM_RSRC2:USER_SGPR: 2
; COMPUTE_PGM_RSRC2:TRAP_HANDLER: 0
; COMPUTE_PGM_RSRC2:TGID_X_EN: 1
; COMPUTE_PGM_RSRC2:TGID_Y_EN: 0
; COMPUTE_PGM_RSRC2:TGID_Z_EN: 0
; COMPUTE_PGM_RSRC2:TIDIG_COMP_CNT: 0
	.section	.text._ZN2ck27kernel_gemm_xdl_cshuffle_v3INS_28GridwiseGemm_xdl_cshuffle_v3INS_13tensor_layout4gemm8RowMajorENS3_11ColumnMajorES4_DF16_NS_7pk_i4_tEfDF16_DF16_NS_16tensor_operation12element_wise11PassThroughES9_S9_LNS7_6device18GemmSpecializationE0ELi256ELi1ELi128ELi128ELi128ELi64ELi8ELi16ELi16ELi16ELi8ELi1ENS_8SequenceIJLi8ELi32ELi1EEEENSC_IJLi1ELi0ELi2EEEESE_Li2ELi8ELi8ELb0ELi0ENSC_IJLi2ELi128ELi1EEEESE_SE_Li2ELi16ELi16ELb0ELi0ELi1ELi1ENSC_IJLi1ELi16ELi1ELi16EEEELi4ELNS_26BlockGemmPipelineSchedulerE0ELNS_24BlockGemmPipelineVersionE2EDF16_DF16_Lb0ELb1EEELb1ELNS_25InMemoryDataOperationEnumE1ELi2ELNS_10TailNumberE10EEEvNT_8ArgumentE,"axG",@progbits,_ZN2ck27kernel_gemm_xdl_cshuffle_v3INS_28GridwiseGemm_xdl_cshuffle_v3INS_13tensor_layout4gemm8RowMajorENS3_11ColumnMajorES4_DF16_NS_7pk_i4_tEfDF16_DF16_NS_16tensor_operation12element_wise11PassThroughES9_S9_LNS7_6device18GemmSpecializationE0ELi256ELi1ELi128ELi128ELi128ELi64ELi8ELi16ELi16ELi16ELi8ELi1ENS_8SequenceIJLi8ELi32ELi1EEEENSC_IJLi1ELi0ELi2EEEESE_Li2ELi8ELi8ELb0ELi0ENSC_IJLi2ELi128ELi1EEEESE_SE_Li2ELi16ELi16ELb0ELi0ELi1ELi1ENSC_IJLi1ELi16ELi1ELi16EEEELi4ELNS_26BlockGemmPipelineSchedulerE0ELNS_24BlockGemmPipelineVersionE2EDF16_DF16_Lb0ELb1EEELb1ELNS_25InMemoryDataOperationEnumE1ELi2ELNS_10TailNumberE10EEEvNT_8ArgumentE,comdat
	.protected	_ZN2ck27kernel_gemm_xdl_cshuffle_v3INS_28GridwiseGemm_xdl_cshuffle_v3INS_13tensor_layout4gemm8RowMajorENS3_11ColumnMajorES4_DF16_NS_7pk_i4_tEfDF16_DF16_NS_16tensor_operation12element_wise11PassThroughES9_S9_LNS7_6device18GemmSpecializationE0ELi256ELi1ELi128ELi128ELi128ELi64ELi8ELi16ELi16ELi16ELi8ELi1ENS_8SequenceIJLi8ELi32ELi1EEEENSC_IJLi1ELi0ELi2EEEESE_Li2ELi8ELi8ELb0ELi0ENSC_IJLi2ELi128ELi1EEEESE_SE_Li2ELi16ELi16ELb0ELi0ELi1ELi1ENSC_IJLi1ELi16ELi1ELi16EEEELi4ELNS_26BlockGemmPipelineSchedulerE0ELNS_24BlockGemmPipelineVersionE2EDF16_DF16_Lb0ELb1EEELb1ELNS_25InMemoryDataOperationEnumE1ELi2ELNS_10TailNumberE10EEEvNT_8ArgumentE ; -- Begin function _ZN2ck27kernel_gemm_xdl_cshuffle_v3INS_28GridwiseGemm_xdl_cshuffle_v3INS_13tensor_layout4gemm8RowMajorENS3_11ColumnMajorES4_DF16_NS_7pk_i4_tEfDF16_DF16_NS_16tensor_operation12element_wise11PassThroughES9_S9_LNS7_6device18GemmSpecializationE0ELi256ELi1ELi128ELi128ELi128ELi64ELi8ELi16ELi16ELi16ELi8ELi1ENS_8SequenceIJLi8ELi32ELi1EEEENSC_IJLi1ELi0ELi2EEEESE_Li2ELi8ELi8ELb0ELi0ENSC_IJLi2ELi128ELi1EEEESE_SE_Li2ELi16ELi16ELb0ELi0ELi1ELi1ENSC_IJLi1ELi16ELi1ELi16EEEELi4ELNS_26BlockGemmPipelineSchedulerE0ELNS_24BlockGemmPipelineVersionE2EDF16_DF16_Lb0ELb1EEELb1ELNS_25InMemoryDataOperationEnumE1ELi2ELNS_10TailNumberE10EEEvNT_8ArgumentE
	.globl	_ZN2ck27kernel_gemm_xdl_cshuffle_v3INS_28GridwiseGemm_xdl_cshuffle_v3INS_13tensor_layout4gemm8RowMajorENS3_11ColumnMajorES4_DF16_NS_7pk_i4_tEfDF16_DF16_NS_16tensor_operation12element_wise11PassThroughES9_S9_LNS7_6device18GemmSpecializationE0ELi256ELi1ELi128ELi128ELi128ELi64ELi8ELi16ELi16ELi16ELi8ELi1ENS_8SequenceIJLi8ELi32ELi1EEEENSC_IJLi1ELi0ELi2EEEESE_Li2ELi8ELi8ELb0ELi0ENSC_IJLi2ELi128ELi1EEEESE_SE_Li2ELi16ELi16ELb0ELi0ELi1ELi1ENSC_IJLi1ELi16ELi1ELi16EEEELi4ELNS_26BlockGemmPipelineSchedulerE0ELNS_24BlockGemmPipelineVersionE2EDF16_DF16_Lb0ELb1EEELb1ELNS_25InMemoryDataOperationEnumE1ELi2ELNS_10TailNumberE10EEEvNT_8ArgumentE
	.p2align	8
	.type	_ZN2ck27kernel_gemm_xdl_cshuffle_v3INS_28GridwiseGemm_xdl_cshuffle_v3INS_13tensor_layout4gemm8RowMajorENS3_11ColumnMajorES4_DF16_NS_7pk_i4_tEfDF16_DF16_NS_16tensor_operation12element_wise11PassThroughES9_S9_LNS7_6device18GemmSpecializationE0ELi256ELi1ELi128ELi128ELi128ELi64ELi8ELi16ELi16ELi16ELi8ELi1ENS_8SequenceIJLi8ELi32ELi1EEEENSC_IJLi1ELi0ELi2EEEESE_Li2ELi8ELi8ELb0ELi0ENSC_IJLi2ELi128ELi1EEEESE_SE_Li2ELi16ELi16ELb0ELi0ELi1ELi1ENSC_IJLi1ELi16ELi1ELi16EEEELi4ELNS_26BlockGemmPipelineSchedulerE0ELNS_24BlockGemmPipelineVersionE2EDF16_DF16_Lb0ELb1EEELb1ELNS_25InMemoryDataOperationEnumE1ELi2ELNS_10TailNumberE10EEEvNT_8ArgumentE,@function
_ZN2ck27kernel_gemm_xdl_cshuffle_v3INS_28GridwiseGemm_xdl_cshuffle_v3INS_13tensor_layout4gemm8RowMajorENS3_11ColumnMajorES4_DF16_NS_7pk_i4_tEfDF16_DF16_NS_16tensor_operation12element_wise11PassThroughES9_S9_LNS7_6device18GemmSpecializationE0ELi256ELi1ELi128ELi128ELi128ELi64ELi8ELi16ELi16ELi16ELi8ELi1ENS_8SequenceIJLi8ELi32ELi1EEEENSC_IJLi1ELi0ELi2EEEESE_Li2ELi8ELi8ELb0ELi0ENSC_IJLi2ELi128ELi1EEEESE_SE_Li2ELi16ELi16ELb0ELi0ELi1ELi1ENSC_IJLi1ELi16ELi1ELi16EEEELi4ELNS_26BlockGemmPipelineSchedulerE0ELNS_24BlockGemmPipelineVersionE2EDF16_DF16_Lb0ELb1EEELb1ELNS_25InMemoryDataOperationEnumE1ELi2ELNS_10TailNumberE10EEEvNT_8ArgumentE: ; @_ZN2ck27kernel_gemm_xdl_cshuffle_v3INS_28GridwiseGemm_xdl_cshuffle_v3INS_13tensor_layout4gemm8RowMajorENS3_11ColumnMajorES4_DF16_NS_7pk_i4_tEfDF16_DF16_NS_16tensor_operation12element_wise11PassThroughES9_S9_LNS7_6device18GemmSpecializationE0ELi256ELi1ELi128ELi128ELi128ELi64ELi8ELi16ELi16ELi16ELi8ELi1ENS_8SequenceIJLi8ELi32ELi1EEEENSC_IJLi1ELi0ELi2EEEESE_Li2ELi8ELi8ELb0ELi0ENSC_IJLi2ELi128ELi1EEEESE_SE_Li2ELi16ELi16ELb0ELi0ELi1ELi1ENSC_IJLi1ELi16ELi1ELi16EEEELi4ELNS_26BlockGemmPipelineSchedulerE0ELNS_24BlockGemmPipelineVersionE2EDF16_DF16_Lb0ELb1EEELb1ELNS_25InMemoryDataOperationEnumE1ELi2ELNS_10TailNumberE10EEEvNT_8ArgumentE
; %bb.0:
	v_mov_b32_e32 v1, 0
	s_clause 0x1
	s_load_b256 s[4:11], s[0:1], 0x10
	s_load_b32 s22, s[0:1], 0x40
	s_lshr_b32 s2, ttmp7, 16
	s_mov_b32 s23, ttmp9
	global_load_u8 v1, v1, s[0:1] offset:115
	s_mov_b64 s[26:27], 0
	s_wait_kmcnt 0x0
	s_cmp_gt_i32 s11, 1
	s_cselect_b32 s3, -1, 0
	s_wait_loadcnt 0x0
	v_and_b32_e32 v1, 1, v1
	s_delay_alu instid0(VALU_DEP_1) | instskip(SKIP_1) | instid1(SALU_CYCLE_1)
	v_cmp_eq_u32_e32 vcc_lo, 1, v1
	s_and_b32 s3, s3, vcc_lo
	s_and_not1_b32 vcc_lo, exec_lo, s3
	s_cbranch_vccnz .LBB3_2
; %bb.1:
	s_mul_i32 s3, s4, s2
	s_delay_alu instid0(SALU_CYCLE_1) | instskip(NEXT) | instid1(SALU_CYCLE_1)
	s_mul_i32 s26, s3, s5
	s_ashr_i32 s27, s26, 31
.LBB3_2:
	s_clause 0x1
	s_load_b32 s3, s[0:1], 0x38
	s_load_b256 s[12:19], s[0:1], 0x50
	s_add_co_i32 s25, s4, -1
	s_mov_b32 s24, 0
	s_cmp_lt_u32 s25, 0x80
	s_cbranch_scc1 .LBB3_6
; %bb.3:
	s_add_co_i32 s0, s5, -1
	s_delay_alu instid0(SALU_CYCLE_1)
	s_cmp_lt_u32 s0, 0x80
	s_mov_b32 s0, 0
	s_cbranch_scc1 .LBB3_10
; %bb.4:
	s_add_co_i32 s0, s4, 0x7f
	s_add_co_i32 s1, s5, 0x7f
	s_ashr_i32 s20, s0, 31
	s_ashr_i32 s21, s1, 31
	s_lshr_b32 s20, s20, 25
	s_lshr_b32 s21, s21, 25
	s_add_co_i32 s0, s0, s20
	s_add_co_i32 s20, s1, s21
	s_ashr_i32 s1, s0, 7
	s_ashr_i32 s0, s20, 7
	;; [unrolled: 1-line block ×3, first 2 shown]
	s_mul_i32 s20, s0, s1
	s_delay_alu instid0(SALU_CYCLE_1) | instskip(NEXT) | instid1(SALU_CYCLE_1)
	s_add_co_i32 s21, s20, 7
	s_ashr_i32 s28, s21, 31
	s_delay_alu instid0(SALU_CYCLE_1) | instskip(NEXT) | instid1(SALU_CYCLE_1)
	s_lshr_b32 s28, s28, 29
	s_add_co_i32 s28, s21, s28
	s_lshr_b32 s21, s29, 29
	s_and_b32 s30, s28, -8
	s_add_co_i32 s29, s23, s21
	s_sub_co_i32 s21, s20, s30
	s_and_b32 s20, s29, -8
	s_add_co_i32 s21, s21, 8
	s_sub_co_i32 s23, s23, s20
	s_ashr_i32 s28, s28, 3
	s_cmp_gt_i32 s23, s21
	s_cbranch_scc1 .LBB3_7
; %bb.5:
	s_mul_i32 s20, s28, s23
	s_ashr_i32 s29, s29, 3
	s_cbranch_execz .LBB3_8
	s_branch .LBB3_9
.LBB3_6:
	s_mov_b32 s28, s24
	s_branch .LBB3_11
.LBB3_7:
                                        ; implicit-def: $sgpr20
	s_ashr_i32 s29, s29, 3
.LBB3_8:
	s_add_co_i32 s20, s28, -1
	s_delay_alu instid0(SALU_CYCLE_1) | instskip(NEXT) | instid1(SALU_CYCLE_1)
	s_mul_i32 s20, s20, s23
	s_add_co_i32 s20, s21, s20
.LBB3_9:
	s_abs_i32 s21, s0
	s_add_co_i32 s20, s20, s29
	s_cvt_f32_u32 s23, s21
	s_sub_co_i32 s28, 0, s21
	s_abs_i32 s29, s20
	s_delay_alu instid0(SALU_CYCLE_1) | instskip(NEXT) | instid1(TRANS32_DEP_1)
	v_rcp_iflag_f32_e32 v1, s23
	v_readfirstlane_b32 s23, v1
	s_mul_f32 s23, s23, 0x4f7ffffe
	s_wait_alu 0xfffe
	s_delay_alu instid0(SALU_CYCLE_2) | instskip(SKIP_1) | instid1(SALU_CYCLE_2)
	s_cvt_u32_f32 s23, s23
	s_wait_alu 0xfffe
	s_mul_i32 s28, s28, s23
	s_delay_alu instid0(SALU_CYCLE_1) | instskip(NEXT) | instid1(SALU_CYCLE_1)
	s_mul_hi_u32 s28, s23, s28
	s_add_co_i32 s23, s23, s28
	s_xor_b32 s28, s20, s0
	s_wait_alu 0xfffe
	s_mul_hi_u32 s23, s29, s23
	s_ashr_i32 s28, s28, 31
	s_wait_alu 0xfffe
	s_mul_i32 s30, s23, s21
	s_delay_alu instid0(SALU_CYCLE_1)
	s_sub_co_i32 s29, s29, s30
	s_add_co_i32 s30, s23, 1
	s_sub_co_i32 s31, s29, s21
	s_cmp_ge_u32 s29, s21
	s_cselect_b32 s23, s30, s23
	s_cselect_b32 s29, s31, s29
	s_wait_alu 0xfffe
	s_add_co_i32 s30, s23, 1
	s_cmp_ge_u32 s29, s21
	s_cselect_b32 s21, s30, s23
	s_lshr_b32 s23, s1, 30
	s_xor_b32 s21, s21, s28
	s_wait_alu 0xfffe
	s_add_co_i32 s23, s1, s23
	s_sub_co_i32 s21, s21, s28
	s_wait_alu 0xfffe
	s_and_b32 s23, s23, -4
	s_mul_i32 s28, s21, s0
	s_wait_alu 0xfffe
	s_sub_co_i32 s1, s1, s23
	s_sub_co_i32 s20, s20, s28
	s_cmp_ge_i32 s21, s23
	s_cselect_b32 s1, s1, 4
	s_ashr_i32 s29, s21, 31
	s_abs_i32 s23, s1
	s_lshr_b32 s29, s29, 30
	s_wait_alu 0xfffe
	s_cvt_f32_u32 s28, s23
	s_add_co_i32 s29, s21, s29
	s_sub_co_i32 s30, 0, s23
	s_and_b32 s29, s29, -4
	v_rcp_iflag_f32_e32 v1, s28
	s_sub_co_i32 s29, s21, s29
	s_wait_alu 0xfffe
	s_mul_i32 s0, s29, s0
	s_delay_alu instid0(SALU_CYCLE_1) | instskip(NEXT) | instid1(TRANS32_DEP_1)
	s_add_co_i32 s20, s0, s20
	v_readfirstlane_b32 s28, v1
	s_mul_f32 s28, s28, 0x4f7ffffe
	s_wait_alu 0xfffe
	s_delay_alu instid0(SALU_CYCLE_2) | instskip(SKIP_1) | instid1(SALU_CYCLE_2)
	s_cvt_u32_f32 s28, s28
	s_wait_alu 0xfffe
	s_mul_i32 s30, s30, s28
	s_delay_alu instid0(SALU_CYCLE_1)
	s_mul_hi_u32 s0, s28, s30
	s_abs_i32 s30, s20
	s_add_co_i32 s28, s28, s0
	s_wait_alu 0xfffe
	s_mul_hi_u32 s0, s30, s28
	s_xor_b32 s28, s20, s1
	s_mul_i32 s31, s0, s23
	s_wait_alu 0xfffe
	s_ashr_i32 s28, s28, 31
	s_sub_co_i32 s30, s30, s31
	s_add_co_i32 s31, s0, 1
	s_sub_co_i32 s33, s30, s23
	s_cmp_ge_u32 s30, s23
	s_cselect_b32 s0, s31, s0
	s_cselect_b32 s30, s33, s30
	s_add_co_i32 s31, s0, 1
	s_cmp_ge_u32 s30, s23
	s_cselect_b32 s0, s31, s0
	s_wait_alu 0xfffe
	s_xor_b32 s0, s0, s28
	s_delay_alu instid0(SALU_CYCLE_1) | instskip(NEXT) | instid1(SALU_CYCLE_1)
	s_sub_co_i32 s0, s0, s28
	s_mul_i32 s1, s0, s1
	s_delay_alu instid0(SALU_CYCLE_1) | instskip(NEXT) | instid1(SALU_CYCLE_1)
	s_sub_co_i32 s1, s20, s1
	s_add_co_i32 s1, s1, s21
	s_delay_alu instid0(SALU_CYCLE_1)
	s_sub_co_i32 s23, s1, s29
.LBB3_10:
	s_wait_alu 0xfffe
	s_mov_b32 s28, s23
	s_mov_b32 s23, s0
.LBB3_11:
	s_wait_kmcnt 0x0
	s_mul_i32 s0, s3, s2
	s_ashr_i32 s1, s3, 31
	s_mul_i32 s20, s0, s5
	s_add_co_i32 s11, s11, -1
	s_lshr_b32 s21, s20, 31
	s_lshr_b32 s1, s1, 25
	s_add_co_i32 s20, s20, s21
	s_add_co_i32 s1, s3, s1
	s_mul_i32 s21, s11, s3
	s_ashr_i32 s20, s20, 1
	s_ashr_i32 s29, s1, 7
	s_sub_co_i32 s1, s6, s21
	s_cmp_lt_i32 s2, s11
	s_wait_alu 0xfffe
	s_mul_i32 s2, s29, s2
	s_cselect_b32 s11, s3, s1
	s_ashr_i32 s1, s0, 31
	s_ashr_i32 s21, s20, 31
	s_lshl_b64 s[0:1], s[0:1], 1
	s_ashr_i32 s3, s2, 31
	s_add_nc_u64 s[0:1], s[12:13], s[0:1]
	s_add_nc_u64 s[12:13], s[14:15], s[20:21]
	s_lshl_b64 s[2:3], s[2:3], 1
	s_mov_b32 s14, s7
	s_mov_b32 s15, s24
	v_lshrrev_b32_e32 v25, 1, v0
	s_add_nc_u64 s[20:21], s[18:19], s[2:3]
	s_mul_u64 s[2:3], s[24:25], s[14:15]
	s_ashr_i32 s2, s8, 31
	s_add_co_i32 s6, s11, 0x7f
	s_lshr_b32 s2, s2, 26
	s_ashr_i32 s14, s6, 31
	v_dual_mov_b32 v232, 8 :: v_dual_and_b32 v5, 0x7c, v25
	v_and_b32_e32 v26, 7, v0
	v_and_b32_e32 v27, 4, v25
	v_lshlrev_b32_e32 v6, 1, v0
	s_add_co_i32 s2, s8, s2
	s_lshr_b32 s8, s14, 25
	v_lshl_or_b32 v1, s28, 7, v5
	s_add_co_i32 s6, s6, s8
	v_xor_b32_e32 v3, v27, v26
	v_lshlrev_b32_e32 v5, 6, v5
	v_and_b32_e32 v231, 2, v6
	s_ashr_i32 s14, s2, 6
	s_ashr_i32 s2, s6, 7
	s_add_co_i32 s6, s5, -1
	v_bfe_u32 v7, v0, 1, 2
	s_mul_i32 s15, s10, s6
	s_lshl_b32 s6, s23, 7
	v_lshl_or_b32 v28, v3, 3, v5
	v_add_nc_u32_e32 v5, s6, v25
	v_lshlrev_b32_e32 v9, 4, v231
	v_and_b32_e32 v49, 15, v0
	v_and_b32_e32 v6, 32, v6
	;; [unrolled: 1-line block ×3, first 2 shown]
	v_lshl_or_b32 v29, v231, 2, v7
	v_bfe_u32 v30, v0, 3, 4
	v_lshrrev_b32_e32 v7, 3, v0
	v_lshl_or_b32 v13, v5, 6, v9
	v_lshrrev_b32_e32 v5, 2, v6
	v_or_b32_e32 v9, v10, v49
	v_xor_b32_e32 v31, v29, v30
	v_lshlrev_b32_e32 v7, 8, v7
	v_mul_lo_u32 v4, v1, s7
	v_and_or_b32 v32, v0, 3, v5
	v_bfe_u32 v33, v9, 2, 4
	v_lshrrev_b32_e32 v5, 2, v9
	v_lshl_or_b32 v34, v31, 4, v7
	v_or_b32_e32 v7, s6, v9
	v_lshlrev_b32_e32 v2, 3, v26
	v_lshrrev_b32_e32 v35, 3, v6
	v_xor_b32_e32 v36, v33, v32
	v_lshlrev_b32_e32 v5, 8, v5
	s_ashr_i32 s18, s22, 31
	v_mul_lo_u32 v233, v7, s10
	s_lshr_b32 s10, s18, 29
	v_add_nc_u32_e32 v8, v4, v2
	v_xor_b32_e32 v37, v35, v26
	v_lshl_or_b32 v38, v36, 4, v5
	s_wait_alu 0xfffe
	s_add_co_i32 s22, s22, s10
	s_lshl_b32 s8, s5, 6
	s_add_co_i32 s10, s2, s15
	s_wait_alu 0xfffe
	s_ashr_i32 s19, s22, 3
	scratch_store_b32 off, v10, off offset:4 ; 4-byte Folded Spill
	; sched_barrier mask(0x00000000)
	v_or_b32_e32 v39, 1, v231
	v_add_nc_u32_e32 v5, s7, v8
	v_lshlrev_b32_e32 v40, 1, v8
	s_add_co_i32 s11, s11, s3
	v_ashrrev_i32_e32 v21, 1, v13
	v_sub_nc_u32_e32 v6, v39, v231
	v_add_nc_u32_e32 v14, s7, v5
	v_lshlrev_b32_e32 v9, 1, v5
	s_mov_b32 s3, 0x31004000
	s_and_b32 s1, s1, 0xffff
	v_lshlrev_b32_e32 v42, 4, v6
	v_add_nc_u32_e32 v41, s7, v14
	v_lshlrev_b32_e32 v14, 1, v14
	s_wait_alu 0xfffe
	s_lshl_b32 s2, s11, 1
	s_mul_i32 s11, s5, s14
	v_add_nc_u32_e32 v43, v13, v42
	v_lshlrev_b32_e32 v17, 1, v41
	s_clause 0x1
	buffer_load_b128 v[5:8], v40, s[0:3], null offen
	buffer_load_b128 v[9:12], v9, s[0:3], null offen
	s_lshl_b32 s14, s11, 5
	s_and_b32 s13, s13, 0xffff
	v_ashrrev_i32_e32 v23, 1, v43
	s_mov_b32 s15, s3
	s_clause 0x1
	buffer_load_b128 v[13:16], v14, s[0:3], null offen
	buffer_load_b128 v[17:20], v17, s[0:3], null offen
	s_clause 0x1
	buffer_load_b64 v[21:22], v21, s[12:15], null offen
	buffer_load_b64 v[23:24], v23, s[12:15], null offen
	s_lshl_b32 s29, s10, 1
	v_sub_nc_u32_e32 v39, v231, v39
	s_mul_i32 s10, s7, -3
	v_lshlrev_b32_e32 v44, 1, v233
	s_wait_alu 0xfffe
	v_add3_u32 v41, s10, 64, v41
	s_and_b32 s21, s21, 0xffff
	v_lshl_add_u32 v39, v39, 4, s8
	s_mov_b32 s22, s29
	s_mov_b32 s23, s3
	v_add_nc_u32_e32 v45, s7, v41
	buffer_load_u16 v44, v44, s[20:23], null offen
	v_add_nc_u32_e32 v43, v43, v39
	v_lshlrev_b32_e32 v41, 1, v41
	v_or_b32_e32 v29, 4, v29
	v_add_nc_u32_e32 v46, s7, v45
	v_lshlrev_b32_e32 v45, 1, v45
	v_add_nc_u32_e32 v42, v43, v42
	v_ashrrev_i32_e32 v43, 1, v43
	v_or_b32_e32 v32, 4, v32
	v_lshlrev_b32_e32 v47, 1, v46
	v_add_lshl_u32 v46, v46, s7, 1
	v_ashrrev_i32_e32 v48, 1, v42
	s_clause 0x3
	buffer_load_b128 v[77:80], v41, s[0:3], null offen
	buffer_load_b128 v[73:76], v45, s[0:3], null offen
	;; [unrolled: 1-line block ×4, first 2 shown]
	s_clause 0x1
	buffer_load_b64 v[227:228], v43, s[12:15], null offen
	buffer_load_b64 v[225:226], v48, s[12:15], null offen
	v_or_b32_e32 v43, 1, v27
	v_or_b32_e32 v45, 2, v27
	;; [unrolled: 1-line block ×3, first 2 shown]
	v_lshlrev_b32_e32 v46, 7, v49
	v_or_b32_e32 v47, 1, v35
	v_or_b32_e32 v48, 2, v35
	v_or_b32_e32 v35, 3, v35
	v_xor_b32_e32 v43, v43, v26
	v_xor_b32_e32 v45, v45, v26
	v_lshlrev_b32_e32 v41, 1, v28
	v_xor_b32_e32 v27, v27, v26
	v_xor_b32_e32 v29, v29, v30
	v_lshl_or_b32 v236, v37, 4, v46
	v_xor_b32_e32 v30, v47, v26
	v_xor_b32_e32 v46, v48, v26
	;; [unrolled: 1-line block ×4, first 2 shown]
	v_sub_nc_u32_e32 v33, v43, v3
	v_sub_nc_u32_e32 v35, v45, v43
	;; [unrolled: 1-line block ×5, first 2 shown]
	v_lshlrev_b32_e32 v237, 3, v33
	v_lshl_add_u32 v33, v33, 4, v41
	v_lshlrev_b32_e32 v238, 3, v35
	v_lshlrev_b32_e32 v35, 4, v35
	v_sub_nc_u32_e32 v30, v30, v37
	v_sub_nc_u32_e32 v32, v32, v36
	;; [unrolled: 1-line block ×3, first 2 shown]
	v_lshlrev_b32_e32 v37, 4, v43
	v_lshl_add_u32 v240, v31, 4, v236
	v_add3_u32 v31, 0x80, v33, v35
	v_lshrrev_b32_e32 v50, 1, v34
	v_lshl_add_u32 v29, v29, 4, v34
	v_lshl_add_u32 v239, v30, 4, v236
	;; [unrolled: 1-line block ×4, first 2 shown]
	v_add3_u32 v26, 0x80, v31, v37
	scratch_store_b32 off, v49, off offset:8 ; 4-byte Folded Spill
	v_and_b32_e32 v49, 0x7ff8, v50
	v_lshrrev_b32_e32 v235, 1, v38
	v_ashrrev_i32_e32 v242, 1, v29
	v_ashrrev_i32_e32 v243, 1, v30
	s_mov_b32 s10, 0xf000f
	s_mov_b32 s11, 0xf000f0
	s_movk_i32 s18, 0x2c00
	v_sub_nc_u32_e32 v27, v3, v27
	v_lshlrev_b32_e32 v36, 3, v43
	v_add3_u32 v34, v238, v237, 64
	v_add_nc_u32_e32 v245, v42, v39
	s_wait_loadcnt 0xc
	ds_store_b128 v41, v[5:8]
	s_wait_loadcnt 0xb
	ds_store_b128 v33, v[9:12] offset:128
	s_wait_loadcnt 0xa
	ds_store_b128 v31, v[13:16] offset:128
	;; [unrolled: 2-line block ×3, first 2 shown]
	s_wait_loadcnt 0x8
	ds_store_b64 v49, v[21:22] offset:16384
	s_wait_loadcnt 0x7
	ds_store_b64 v242, v[23:24] offset:16384
	s_wait_dscnt 0x0
	s_barrier_signal -1
	s_barrier_wait -1
	ds_load_b128 v[221:224], v236
	ds_load_b128 v[213:216], v236 offset:2048
	ds_load_b128 v[217:220], v239
	ds_load_b128 v[205:208], v239 offset:2048
	ds_load_b128 v[209:212], v236 offset:4096
	;; [unrolled: 1-line block ×11, first 2 shown]
	ds_load_b64 v[5:6], v235 offset:16384
	ds_load_b128 v[113:116], v239 offset:12288
	ds_load_b128 v[109:112], v239 offset:14336
	ds_load_b128 v[181:184], v240
	ds_load_b128 v[81:84], v241 offset:14336
	ds_load_b64 v[7:8], v243 offset:16384
	ds_load_b128 v[173:176], v240 offset:2048
	ds_load_b128 v[169:172], v240 offset:4096
	;; [unrolled: 1-line block ×12, first 2 shown]
	ds_load_b128 v[177:180], v241
	ds_load_b128 v[101:104], v240 offset:14336
	s_wait_dscnt 0x13
	s_wait_alu 0xfffe
	v_and_or_b32 v9, v5, s10, 0x64006400
	v_and_or_b32 v10, v5, s11, 0x64006400
	v_ashrrev_i32_e32 v5, 8, v5
	v_and_or_b32 v11, v6, s10, 0x64006400
	v_and_or_b32 v12, v6, s11, 0x64006400
	v_ashrrev_i32_e32 v6, 8, v6
	s_wait_dscnt 0xe
	v_and_or_b32 v13, v7, s10, 0x64006400
	v_and_or_b32 v14, v7, s11, 0x64006400
	v_ashrrev_i32_e32 v7, 8, v7
	v_and_or_b32 v15, v8, s10, 0x64006400
	v_and_or_b32 v16, v8, s11, 0x64006400
	v_ashrrev_i32_e32 v8, 8, v8
	v_pk_add_f16 v9, 0xe408, v9 op_sel_hi:[0,1]
	v_pk_fma_f16 v10, v10, s18, 0xd480 op_sel_hi:[1,0,0]
	v_and_or_b32 v17, v5, s10, 0x64006400
	v_and_or_b32 v5, v5, s11, 0x64006400
	v_pk_add_f16 v11, 0xe408, v11 op_sel_hi:[0,1]
	v_pk_fma_f16 v12, v12, s18, 0xd480 op_sel_hi:[1,0,0]
	v_and_or_b32 v18, v6, s10, 0x64006400
	v_and_or_b32 v6, v6, s11, 0x64006400
	;; [unrolled: 1-line block ×6, first 2 shown]
	v_lshlrev_b32_e32 v27, 3, v27
	v_add3_u32 v28, v34, v28, v36
	v_pk_add_f16 v13, 0xe408, v13 op_sel_hi:[0,1]
	v_pk_fma_f16 v14, v14, s18, 0xd480 op_sel_hi:[1,0,0]
	v_pk_add_f16 v15, 0xe408, v15 op_sel_hi:[0,1]
	v_pk_fma_f16 v16, v16, s18, 0xd480 op_sel_hi:[1,0,0]
	s_wait_loadcnt 0x6
	v_pk_mul_f16 v197, v44, v9 op_sel_hi:[0,1]
	v_pk_mul_f16 v198, v44, v10 op_sel_hi:[0,1]
	v_pk_add_f16 v9, 0xe408, v17 op_sel_hi:[0,1]
	v_pk_fma_f16 v5, v5, s18, 0xd480 op_sel_hi:[1,0,0]
	v_pk_mul_f16 v193, v44, v11 op_sel_hi:[0,1]
	v_pk_mul_f16 v194, v44, v12 op_sel_hi:[0,1]
	v_pk_add_f16 v10, 0xe408, v18 op_sel_hi:[0,1]
	v_pk_fma_f16 v6, v6, s18, 0xd480 op_sel_hi:[1,0,0]
	v_pk_add_f16 v11, 0xe408, v19 op_sel_hi:[0,1]
	v_pk_fma_f16 v7, v7, s18, 0xd480 op_sel_hi:[1,0,0]
	v_pk_add_f16 v12, 0xe408, v20 op_sel_hi:[0,1]
	v_pk_fma_f16 v8, v8, s18, 0xd480 op_sel_hi:[1,0,0]
	v_add3_u32 v244, v28, v27, 0xffffffc0
	v_pk_mul_f16 v189, v44, v13 op_sel_hi:[0,1]
	v_pk_mul_f16 v190, v44, v14 op_sel_hi:[0,1]
	v_pk_mul_f16 v185, v44, v15 op_sel_hi:[0,1]
	v_pk_mul_f16 v186, v44, v16 op_sel_hi:[0,1]
	v_pk_mul_f16 v199, v44, v9 op_sel_hi:[0,1]
	v_pk_mul_f16 v200, v44, v5 op_sel_hi:[0,1]
	v_pk_mul_f16 v195, v44, v10 op_sel_hi:[0,1]
	v_pk_mul_f16 v196, v44, v6 op_sel_hi:[0,1]
	v_pk_mul_f16 v191, v44, v11 op_sel_hi:[0,1]
	v_pk_mul_f16 v192, v44, v7 op_sel_hi:[0,1]
	v_pk_mul_f16 v187, v44, v12 op_sel_hi:[0,1]
	v_pk_mul_f16 v188, v44, v8 op_sel_hi:[0,1]
	; sched_barrier mask(0x00000000)
	v_or_b32_e32 v5, 3, v25
	v_or_b32_e32 v6, 3, v1
	;; [unrolled: 1-line block ×3, first 2 shown]
	v_dual_mov_b32 v1, 0 :: v_dual_mov_b32 v250, 2
	s_delay_alu instid0(VALU_DEP_4) | instskip(NEXT) | instid1(VALU_DEP_4)
	v_xor_b32_e32 v5, v5, v0
	v_mad_co_u64_u32 v[6:7], null, s7, v6, v[2:3]
	v_add3_u32 v4, v4, s7, v2
	v_mad_co_u64_u32 v[7:8], null, s7, v8, v[2:3]
	s_delay_alu instid0(VALU_DEP_4)
	v_dual_mov_b32 v2, v1 :: v_dual_and_b32 v5, 7, v5
	v_or_b32_e32 v246, 9, v231
	scratch_store_b32 off, v0, off          ; 4-byte Folded Spill
	v_dual_mov_b32 v0, v50 :: v_dual_add_nc_u32 v247, 0x100, v40
	v_sub_nc_u32_e32 v9, v5, v45
	v_sub_nc_u32_e32 v5, v3, v5
	v_lshl_add_u32 v249, v4, 1, 0x100
	v_mov_b32_e32 v3, v1
	v_lshl_add_u32 v251, v6, 1, 0x100
	v_lshlrev_b32_e32 v248, 3, v9
	v_dual_mov_b32 v5, v1 :: v_dual_lshlrev_b32 v8, 3, v5
	v_mov_b32_e32 v4, v1
	v_lshl_add_u32 v252, v7, 1, 0x100
	s_delay_alu instid0(VALU_DEP_4) | instskip(SKIP_2) | instid1(VALU_DEP_3)
	v_dual_mov_b32 v6, v1 :: v_dual_add_nc_u32 v9, v34, v248
	v_dual_mov_b32 v7, v1 :: v_dual_mov_b32 v10, v1
	v_mov_b32_e32 v11, v1
	v_add3_u32 v253, v9, v8, 0xffffffc0
	v_dual_mov_b32 v8, v1 :: v_dual_mov_b32 v9, v1
	v_dual_mov_b32 v12, v1 :: v_dual_mov_b32 v13, v1
	;; [unrolled: 1-line block ×27, first 2 shown]
	v_mov_b32_e32 v64, v1
	s_max_i32 s19, s19, 2
	s_mov_b32 s7, s24
	s_wait_alu 0xfffe
	s_add_co_i32 s19, s19, -1
.LBB3_12:                               ; =>This Inner Loop Header: Depth=1
	v_lshlrev_b32_e32 v254, 1, v244
	s_wait_dscnt 0x0
	s_barrier_signal -1
	s_barrier_wait -1
	v_add_nc_u32_e64 v230, 2, s7
	s_wait_loadcnt 0x5
	ds_store_b128 v254, v[77:80]
	v_lshl_add_u32 v254, v237, 1, v254
	v_sub_nc_u32_e32 v229, v246, v232
	v_lshrrev_b32_e32 v234, 31, v245
	v_wmma_f32_16x16x16_f16 v[57:64], v[221:224], v[197:200], v[57:64]
	buffer_load_b128 v[77:80], v247, s[0:3], null offen
	s_wait_loadcnt 0x5
	ds_store_b128 v254, v[73:76] offset:128
	v_lshlrev_b32_e32 v74, 1, v233
	v_sub_nc_u32_e32 v75, v230, v250
	v_sub_nc_u32_e32 v76, v229, v231
	v_add_nc_u32_e32 v221, v245, v234
	v_wmma_f32_16x16x16_f16 v[57:64], v[217:220], v[193:196], v[57:64]
	buffer_load_u16 v234, v74, s[20:23], null offen
	v_mul_lo_u32 v74, v75, s8
	v_lshlrev_b32_e32 v255, 1, v238
	v_lshlrev_b32_e32 v75, 4, v76
	;; [unrolled: 1-line block ×3, first 2 shown]
	v_ashrrev_i32_e32 v217, 1, v221
	v_add_nc_u32_e64 v250, 3, s7
	v_add3_u32 v76, 0x80, v254, v255
	s_and_not1_b32 s29, 1, s7
	v_add3_u32 v218, v74, v245, v75
	v_add_nc_u32_e32 v244, v244, v253
	s_wait_alu 0xfffe
	v_add_nc_u32_e32 v233, s29, v233
	s_wait_loadcnt 0x5
	ds_store_b128 v76, v[65:68] offset:128
	v_add3_u32 v65, 0x80, v76, v73
	v_lshrrev_b32_e32 v66, 31, v218
	v_wmma_f32_16x16x16_f16 v[49:56], v[213:216], v[197:200], v[49:56]
	buffer_load_b128 v[73:76], v249, s[0:3], null offen
	; sched_group_barrier mask(0x00000200) size(1) SyncID(0)
	; sched_group_barrier mask(0x00000008) size(1) SyncID(0)
	; sched_group_barrier mask(0x00000020) size(1) SyncID(0)
	; sched_group_barrier mask(0x00000008) size(-1) SyncID(0)
	; sched_group_barrier mask(0x00000200) size(1) SyncID(0)
	; sched_group_barrier mask(0x00000008) size(1) SyncID(0)
	; sched_group_barrier mask(0x00000020) size(1) SyncID(0)
	; sched_group_barrier mask(0x00000008) size(-1) SyncID(0)
	;; [unrolled: 4-line block ×3, first 2 shown]
	s_wait_loadcnt 0x5
	ds_store_b128 v65, v[69:72] offset:128
	v_add_nc_u32_e32 v69, v218, v66
	v_wmma_f32_16x16x16_f16 v[49:56], v[205:208], v[193:196], v[49:56]
	buffer_load_b128 v[65:68], v252, s[0:3], null offen
	s_wait_loadcnt 0x5
	ds_store_b64 v0, v[227:228] offset:16384
	v_wmma_f32_16x16x16_f16 v[41:48], v[209:212], v[197:200], v[41:48]
	v_ashrrev_i32_e32 v205, 1, v69
	buffer_load_b128 v[69:72], v251, s[0:3], null offen
	s_wait_loadcnt 0x5
	ds_store_b64 v242, v[225:226] offset:16384
	; sched_group_barrier mask(0x00000200) size(1) SyncID(0)
	; sched_group_barrier mask(0x00000008) size(1) SyncID(0)
	;; [unrolled: 1-line block ×3, first 2 shown]
	; sched_group_barrier mask(0x00000008) size(-1) SyncID(0)
	; sched_group_barrier mask(0x00000200) size(1) SyncID(0)
	; sched_group_barrier mask(0x00000008) size(1) SyncID(0)
	;; [unrolled: 1-line block ×3, first 2 shown]
	; sched_group_barrier mask(0x00000008) size(-1) SyncID(0)
	; sched_group_barrier mask(0x00000200) size(1) SyncID(0)
	v_wmma_f32_16x16x16_f16 v[41:48], v[201:204], v[193:196], v[41:48]
	s_clause 0x1
	buffer_load_b64 v[227:228], v217, s[12:15], null offen
	buffer_load_b64 v[225:226], v205, s[12:15], null offen
	v_sub_nc_u32_e32 v202, v250, v230
	v_sub_nc_u32_e32 v201, v231, v229
	s_wait_dscnt 0x0
	s_barrier_signal -1
	s_barrier_wait -1
	v_mul_lo_u32 v202, v202, s8
	v_lshlrev_b32_e32 v201, 4, v201
	ds_load_b128 v[221:224], v236
	v_wmma_f32_16x16x16_f16 v[33:40], v[161:164], v[197:200], v[33:40]
	; sched_group_barrier mask(0x00000008) size(1) SyncID(0)
	; sched_group_barrier mask(0x00000020) size(1) SyncID(0)
	; sched_group_barrier mask(0x00000008) size(-1) SyncID(0)
	; sched_group_barrier mask(0x00000100) size(1) SyncID(0)
	; sched_group_barrier mask(0x00000008) size(1) SyncID(0)
	v_add3_u32 v245, v201, v202, v218
	ds_load_b128 v[217:220], v239
	v_wmma_f32_16x16x16_f16 v[33:40], v[133:136], v[193:196], v[33:40]
	ds_load_b128 v[213:216], v236 offset:2048
	v_wmma_f32_16x16x16_f16 v[25:32], v[153:156], v[197:200], v[25:32]
	ds_load_b128 v[205:208], v239 offset:2048
	; sched_group_barrier mask(0x00000100) size(1) SyncID(0)
	; sched_group_barrier mask(0x00000008) size(1) SyncID(0)
	;; [unrolled: 1-line block ×5, first 2 shown]
	v_wmma_f32_16x16x16_f16 v[25:32], v[141:144], v[193:196], v[25:32]
	ds_load_b128 v[209:212], v236 offset:4096
	v_wmma_f32_16x16x16_f16 v[17:24], v[145:148], v[197:200], v[17:24]
	ds_load_b128 v[201:204], v239 offset:4096
	; sched_group_barrier mask(0x00000008) size(1) SyncID(0)
	; sched_group_barrier mask(0x00000100) size(1) SyncID(0)
	; sched_group_barrier mask(0x00000008) size(1) SyncID(0)
	; sched_group_barrier mask(0x00000100) size(1) SyncID(0)
	v_wmma_f32_16x16x16_f16 v[17:24], v[137:140], v[193:196], v[17:24]
	ds_load_b128 v[161:164], v236 offset:6144
	v_wmma_f32_16x16x16_f16 v[9:16], v[129:132], v[197:200], v[9:16]
	ds_load_b128 v[133:136], v239 offset:6144
	; sched_group_barrier mask(0x00000008) size(1) SyncID(0)
	; sched_group_barrier mask(0x00000100) size(1) SyncID(0)
	; sched_group_barrier mask(0x00000008) size(1) SyncID(0)
	; sched_group_barrier mask(0x00000100) size(1) SyncID(0)
	;; [unrolled: 8-line block ×6, first 2 shown]
	v_wmma_f32_16x16x16_f16 v[41:48], v[157:160], v[185:188], v[41:48]
	ds_load_b64 v[193:194], v235 offset:16384
	v_wmma_f32_16x16x16_f16 v[33:40], v[149:152], v[189:192], v[33:40]
	ds_load_b128 v[181:184], v240
	; sched_group_barrier mask(0x00000008) size(1) SyncID(0)
	; sched_group_barrier mask(0x00000100) size(1) SyncID(0)
	;; [unrolled: 1-line block ×4, first 2 shown]
	v_wmma_f32_16x16x16_f16 v[33:40], v[85:88], v[185:188], v[33:40]
	ds_load_b128 v[177:180], v241
	v_wmma_f32_16x16x16_f16 v[25:32], v[121:124], v[189:192], v[25:32]
	ds_load_b128 v[173:176], v240 offset:2048
	; sched_group_barrier mask(0x00000008) size(1) SyncID(0)
	; sched_group_barrier mask(0x00000100) size(1) SyncID(0)
	;; [unrolled: 1-line block ×4, first 2 shown]
	v_wmma_f32_16x16x16_f16 v[25:32], v[97:100], v[185:188], v[25:32]
	ds_load_b128 v[165:168], v241 offset:2048
	v_wmma_f32_16x16x16_f16 v[17:24], v[117:120], v[189:192], v[17:24]
	ds_load_b128 v[169:172], v240 offset:4096
	; sched_group_barrier mask(0x00000008) size(1) SyncID(0)
	; sched_group_barrier mask(0x00000100) size(1) SyncID(0)
	;; [unrolled: 1-line block ×4, first 2 shown]
	v_wmma_f32_16x16x16_f16 v[17:24], v[93:96], v[185:188], v[17:24]
	ds_load_b128 v[157:160], v241 offset:4096
	v_wmma_f32_16x16x16_f16 v[9:16], v[105:108], v[189:192], v[9:16]
	ds_load_b128 v[149:152], v240 offset:6144
	s_wait_dscnt 0x7
	v_ashrrev_i32_e32 v195, 8, v194
	; sched_group_barrier mask(0x00000008) size(1) SyncID(0)
	; sched_group_barrier mask(0x00000100) size(1) SyncID(0)
	;; [unrolled: 1-line block ×4, first 2 shown]
	v_wmma_f32_16x16x16_f16 v[9:16], v[89:92], v[185:188], v[9:16]
	ds_load_b128 v[85:88], v241 offset:6144
	v_wmma_f32_16x16x16_f16 v[1:8], v[101:104], v[189:192], v[1:8]
	ds_load_b128 v[121:124], v240 offset:8192
	v_and_or_b32 v189, v193, s10, 0x64006400
	v_ashrrev_i32_e32 v191, 8, v193
	v_and_or_b32 v192, v194, s10, 0x64006400
	v_wmma_f32_16x16x16_f16 v[1:8], v[81:84], v[185:188], v[1:8]
	ds_load_b128 v[97:100], v241 offset:8192
	ds_load_b128 v[117:120], v240 offset:10240
	;; [unrolled: 1-line block ×7, first 2 shown]
	ds_load_b64 v[185:186], v243 offset:16384
	v_pk_add_f16 v187, 0xe408, v189 op_sel_hi:[0,1]
	v_and_or_b32 v188, v191, s10, 0x64006400
	v_and_or_b32 v190, v193, s11, 0x64006400
	;; [unrolled: 1-line block ×4, first 2 shown]
	v_pk_add_f16 v191, 0xe408, v192 op_sel_hi:[0,1]
	v_pk_add_f16 v188, 0xe408, v188 op_sel_hi:[0,1]
	v_pk_fma_f16 v190, v190, s18, 0xd480 op_sel_hi:[1,0,0]
	v_pk_fma_f16 v192, v193, s18, 0xd480 op_sel_hi:[1,0,0]
	;; [unrolled: 1-line block ×3, first 2 shown]
	; sched_group_barrier mask(0x00000008) size(1) SyncID(0)
	; sched_group_barrier mask(0x00000100) size(1) SyncID(0)
	;; [unrolled: 1-line block ×21, first 2 shown]
	s_wait_dscnt 0x0
	v_and_or_b32 v230, v186, s10, 0x64006400
	v_and_or_b32 v254, v186, s11, 0x64006400
	v_ashrrev_i32_e32 v255, 8, v186
	v_and_or_b32 v186, v195, s10, 0x64006400
	v_and_or_b32 v196, v185, s10, 0x64006400
	;; [unrolled: 1-line block ×3, first 2 shown]
	v_ashrrev_i32_e32 v185, 8, v185
	s_delay_alu instid0(VALU_DEP_4) | instskip(SKIP_3) | instid1(VALU_DEP_3)
	v_pk_add_f16 v186, 0xe408, v186 op_sel_hi:[0,1]
	s_wait_loadcnt 0x5
	v_pk_mul_f16 v197, v234, v187 op_sel_hi:[0,1]
	v_and_or_b32 v187, v195, s11, 0x64006400
	v_pk_mul_f16 v195, v234, v186 op_sel_hi:[0,1]
	v_and_or_b32 v186, v185, s10, 0x64006400
	v_and_or_b32 v185, v185, s11, 0x64006400
	v_pk_mul_f16 v199, v234, v188 op_sel_hi:[0,1]
	v_pk_fma_f16 v187, v187, s18, 0xd480 op_sel_hi:[1,0,0]
	v_pk_mul_f16 v193, v234, v191 op_sel_hi:[0,1]
	v_pk_add_f16 v186, 0xe408, v186 op_sel_hi:[0,1]
	v_pk_add_f16 v188, 0xe408, v196 op_sel_hi:[0,1]
	v_pk_fma_f16 v185, v185, s18, 0xd480 op_sel_hi:[1,0,0]
	v_pk_mul_f16 v196, v234, v187 op_sel_hi:[0,1]
	v_pk_fma_f16 v187, v254, s18, 0xd480 op_sel_hi:[1,0,0]
	v_pk_mul_f16 v191, v234, v186 op_sel_hi:[0,1]
	v_pk_add_f16 v186, 0xe408, v230 op_sel_hi:[0,1]
	v_pk_mul_f16 v200, v234, v189 op_sel_hi:[0,1]
	v_pk_mul_f16 v194, v234, v192 op_sel_hi:[0,1]
	v_pk_mul_f16 v189, v234, v188 op_sel_hi:[0,1]
	v_pk_mul_f16 v192, v234, v185 op_sel_hi:[0,1]
	v_pk_mul_f16 v185, v234, v186 op_sel_hi:[0,1]
	v_pk_mul_f16 v186, v234, v187 op_sel_hi:[0,1]
	v_and_or_b32 v187, v255, s10, 0x64006400
	v_and_or_b32 v188, v255, s11, 0x64006400
	v_pk_mul_f16 v198, v234, v190 op_sel_hi:[0,1]
	v_pk_fma_f16 v190, v229, s18, 0xd480 op_sel_hi:[1,0,0]
	s_delay_alu instid0(VALU_DEP_4) | instskip(NEXT) | instid1(VALU_DEP_4)
	v_pk_add_f16 v187, 0xe408, v187 op_sel_hi:[0,1]
	v_pk_fma_f16 v188, v188, s18, 0xd480 op_sel_hi:[1,0,0]
	s_delay_alu instid0(VALU_DEP_3) | instskip(NEXT) | instid1(VALU_DEP_3)
	v_pk_mul_f16 v190, v234, v190 op_sel_hi:[0,1]
	v_pk_mul_f16 v187, v234, v187 op_sel_hi:[0,1]
	s_delay_alu instid0(VALU_DEP_3)
	v_pk_mul_f16 v188, v234, v188 op_sel_hi:[0,1]
	; sched_barrier mask(0x00000000)
	v_add_nc_u32_e32 v232, 4, v232
	v_add_nc_u32_e32 v246, 4, v246
	;; [unrolled: 1-line block ×6, first 2 shown]
	s_add_co_i32 s7, s7, 1
	s_wait_alu 0xfffe
	s_cmp_lg_u32 s19, s7
	s_cbranch_scc1 .LBB3_12
; %bb.13:
	v_wmma_f32_16x16x16_f16 v[57:64], v[221:224], v[197:200], v[57:64]
	v_wmma_f32_16x16x16_f16 v[49:56], v[213:216], v[197:200], v[49:56]
	;; [unrolled: 1-line block ×24, first 2 shown]
	s_lshl_b64 s[0:1], s[26:27], 1
	s_mov_b32 s3, 0
	s_mov_b32 s2, s9
	v_wmma_f32_16x16x16_f16 v[57:64], v[177:180], v[185:188], v[57:64]
	v_wmma_f32_16x16x16_f16 v[49:56], v[165:168], v[185:188], v[49:56]
	;; [unrolled: 1-line block ×8, first 2 shown]
	s_add_nc_u64 s[12:13], s[16:17], s[0:1]
	s_mul_u64 s[2:3], s[24:25], s[2:3]
	; sched_barrier mask(0x00000000)
	s_wait_loadcnt 0x3
	scratch_load_b32 v68, off, off th:TH_LOAD_LU ; 4-byte Folded Reload
	s_wait_dscnt 0x0
	scratch_load_b32 v66, off, off offset:8 th:TH_LOAD_LU ; 4-byte Folded Reload
	s_barrier_signal -1
	s_wait_loadcnt 0x4
	scratch_load_b32 v69, off, off offset:4 th:TH_LOAD_LU ; 4-byte Folded Reload
	v_cvt_f16_f32_e32 v57, v57
	v_cvt_f16_f32_e32 v58, v58
	;; [unrolled: 1-line block ×5, first 2 shown]
	s_barrier_wait -1
	v_cvt_f16_f32_e32 v62, v62
	v_cvt_f16_f32_e32 v63, v63
	;; [unrolled: 1-line block ×3, first 2 shown]
	s_mov_b32 s15, 0x31004000
	s_mov_b32 s2, 4
	v_cvt_f16_f32_e32 v49, v49
	v_cvt_f16_f32_e32 v50, v50
	;; [unrolled: 1-line block ×55, first 2 shown]
	s_wait_loadcnt 0x2
	v_lshlrev_b32_e32 v0, 3, v68
	v_lshrrev_b32_e32 v65, 4, v68
	s_wait_loadcnt 0x1
	v_lshlrev_b32_e32 v66, 1, v66
	v_lshlrev_b32_e32 v68, 7, v68
	v_and_b32_e32 v0, 0x78, v0
	v_lshl_or_b32 v67, s28, 7, v65
	s_wait_loadcnt 0x0
	v_lshl_add_u32 v66, v69, 1, v66
	s_delay_alu instid0(VALU_DEP_3) | instskip(SKIP_1) | instid1(VALU_DEP_3)
	v_or_b32_e32 v69, s6, v0
	v_lshlrev_b32_e32 v0, 1, v0
	v_and_or_b32 v66, 0x800, v68, v66
	v_mul_lo_u32 v70, v67, s9
	v_cmp_gt_i32_e64 s1, s4, v67
	ds_store_b16 v66, v57
	ds_store_b16 v66, v58 offset:256
	ds_store_b16 v66, v59 offset:512
	;; [unrolled: 1-line block ×7, first 2 shown]
	v_lshl_or_b32 v65, v65, 8, v0
	s_wait_dscnt 0x0
	s_barrier_signal -1
	s_barrier_wait -1
	v_cmp_gt_i32_e32 vcc_lo, s5, v69
	ds_load_b64 v[57:58], v65
	v_add_lshl_u32 v0, v70, v69, 1
	v_or_b32_e32 v60, 16, v67
	s_and_b32 s0, s1, vcc_lo
	s_delay_alu instid0(SALU_CYCLE_1)
	v_cndmask_b32_e64 v59, 0x80000000, 0, s0
	s_add_co_i32 s0, s5, s3
	s_lshl_b32 s3, s9, 5
	s_wait_alu 0xfffe
	s_lshl_b32 s14, s0, 1
	v_add_nc_u32_e32 v59, v59, v0
	s_wait_dscnt 0x0
	s_clause 0x1
	buffer_atomic_pk_add_f16 v57, v59, s[12:15], null offen
	buffer_atomic_pk_add_f16 v58, v59, s[12:15], s2 offen
	v_or_b32_e32 v59, 4, v69
	ds_load_b64 v[57:58], v65 offset:8
	v_cmp_gt_i32_e64 s0, s5, v59
	s_and_b32 s1, s1, s0
	s_wait_alu 0xfffe
	v_cndmask_b32_e64 v59, 0x80000000, 0, s1
	v_cmp_gt_i32_e64 s1, s4, v60
	s_delay_alu instid0(VALU_DEP_2)
	v_add_nc_u32_e32 v59, v0, v59
	s_wait_dscnt 0x0
	s_clause 0x1
	buffer_atomic_pk_add_f16 v57, v59, s[12:15], null offen offset:8
	buffer_atomic_pk_add_f16 v58, v59, s[12:15], s2 offen offset:8
	s_wait_dscnt 0x0
	s_barrier_signal -1
	s_barrier_wait -1
	ds_store_b16 v66, v49
	ds_store_b16 v66, v50 offset:256
	ds_store_b16 v66, v51 offset:512
	;; [unrolled: 1-line block ×7, first 2 shown]
	s_wait_dscnt 0x0
	s_barrier_signal -1
	s_barrier_wait -1
	ds_load_b64 v[49:50], v65
	s_and_b32 s5, vcc_lo, s1
	v_add_nc_u32_e32 v0, s3, v0
	s_wait_alu 0xfffe
	v_cndmask_b32_e64 v51, 0x80000000, 0, s5
	s_and_b32 s1, s1, s0
	v_or_b32_e32 v52, 32, v67
	s_delay_alu instid0(VALU_DEP_2)
	v_add_nc_u32_e32 v51, v51, v0
	s_wait_dscnt 0x0
	s_clause 0x1
	buffer_atomic_pk_add_f16 v49, v51, s[12:15], null offen
	buffer_atomic_pk_add_f16 v50, v51, s[12:15], s2 offen
	ds_load_b64 v[49:50], v65 offset:8
	v_cndmask_b32_e64 v51, 0x80000000, 0, s1
	v_cmp_gt_i32_e64 s1, s4, v52
	s_delay_alu instid0(VALU_DEP_2)
	v_add_nc_u32_e32 v51, v0, v51
	s_and_b32 s5, vcc_lo, s1
	s_wait_dscnt 0x0
	s_clause 0x1
	buffer_atomic_pk_add_f16 v49, v51, s[12:15], null offen offset:8
	buffer_atomic_pk_add_f16 v50, v51, s[12:15], s2 offen offset:8
	s_wait_dscnt 0x0
	s_barrier_signal -1
	s_barrier_wait -1
	ds_store_b16 v66, v41
	ds_store_b16 v66, v42 offset:256
	ds_store_b16 v66, v43 offset:512
	;; [unrolled: 1-line block ×7, first 2 shown]
	s_wait_dscnt 0x0
	s_barrier_signal -1
	s_barrier_wait -1
	ds_load_b64 v[41:42], v65
	v_cndmask_b32_e64 v43, 0x80000000, 0, s5
	v_add_nc_u32_e32 v0, s3, v0
	s_and_b32 s1, s1, s0
	v_or_b32_e32 v44, 48, v67
	s_delay_alu instid0(VALU_DEP_2)
	v_add_nc_u32_e32 v43, v43, v0
	s_wait_dscnt 0x0
	s_clause 0x1
	buffer_atomic_pk_add_f16 v41, v43, s[12:15], null offen
	buffer_atomic_pk_add_f16 v42, v43, s[12:15], s2 offen
	ds_load_b64 v[41:42], v65 offset:8
	v_cndmask_b32_e64 v43, 0x80000000, 0, s1
	v_cmp_gt_i32_e64 s1, s4, v44
	s_delay_alu instid0(VALU_DEP_2)
	v_add_nc_u32_e32 v43, v0, v43
	s_wait_dscnt 0x0
	s_clause 0x1
	buffer_atomic_pk_add_f16 v41, v43, s[12:15], null offen offset:8
	buffer_atomic_pk_add_f16 v42, v43, s[12:15], s2 offen offset:8
	s_wait_dscnt 0x0
	s_barrier_signal -1
	s_barrier_wait -1
	ds_store_b16 v66, v33
	ds_store_b16 v66, v34 offset:256
	ds_store_b16 v66, v35 offset:512
	ds_store_b16 v66, v36 offset:768
	ds_store_b16 v66, v37 offset:1024
	ds_store_b16 v66, v38 offset:1280
	ds_store_b16 v66, v39 offset:1536
	ds_store_b16 v66, v40 offset:1792
	s_wait_dscnt 0x0
	s_barrier_signal -1
	s_barrier_wait -1
	ds_load_b64 v[33:34], v65
	s_and_b32 s5, vcc_lo, s1
	v_add_nc_u32_e32 v0, s3, v0
	s_wait_alu 0xfffe
	v_cndmask_b32_e64 v35, 0x80000000, 0, s5
	s_and_b32 s1, s1, s0
	v_or_b32_e32 v36, 64, v67
	s_delay_alu instid0(VALU_DEP_2)
	v_add_nc_u32_e32 v35, v35, v0
	s_wait_dscnt 0x0
	s_clause 0x1
	buffer_atomic_pk_add_f16 v33, v35, s[12:15], null offen
	buffer_atomic_pk_add_f16 v34, v35, s[12:15], s2 offen
	ds_load_b64 v[33:34], v65 offset:8
	v_cndmask_b32_e64 v35, 0x80000000, 0, s1
	v_cmp_gt_i32_e64 s1, s4, v36
	s_delay_alu instid0(VALU_DEP_2)
	v_add_nc_u32_e32 v35, v0, v35
	s_wait_dscnt 0x0
	s_clause 0x1
	buffer_atomic_pk_add_f16 v33, v35, s[12:15], null offen offset:8
	buffer_atomic_pk_add_f16 v34, v35, s[12:15], s2 offen offset:8
	s_wait_dscnt 0x0
	s_barrier_signal -1
	s_barrier_wait -1
	ds_store_b16 v66, v25
	ds_store_b16 v66, v26 offset:256
	ds_store_b16 v66, v27 offset:512
	ds_store_b16 v66, v28 offset:768
	ds_store_b16 v66, v29 offset:1024
	ds_store_b16 v66, v30 offset:1280
	ds_store_b16 v66, v31 offset:1536
	ds_store_b16 v66, v32 offset:1792
	s_wait_dscnt 0x0
	s_barrier_signal -1
	s_barrier_wait -1
	ds_load_b64 v[25:26], v65
	s_and_b32 s5, vcc_lo, s1
	v_add_nc_u32_e32 v0, s3, v0
	s_wait_alu 0xfffe
	v_cndmask_b32_e64 v27, 0x80000000, 0, s5
	;; [unrolled: 36-line block ×4, first 2 shown]
	s_and_b32 s1, s1, s0
	s_delay_alu instid0(VALU_DEP_1)
	v_add_nc_u32_e32 v0, v11, v12
	s_wait_dscnt 0x0
	s_clause 0x1
	buffer_atomic_pk_add_f16 v9, v0, s[12:15], null offen
	buffer_atomic_pk_add_f16 v10, v0, s[12:15], s2 offen
	ds_load_b64 v[9:10], v65 offset:8
	v_cvt_f16_f32_e32 v0, v1
	v_cndmask_b32_e64 v1, 0x80000000, 0, s1
	v_or_b32_e32 v11, 0x70, v67
	s_delay_alu instid0(VALU_DEP_2)
	v_add_nc_u32_e32 v1, v12, v1
	s_wait_dscnt 0x0
	s_clause 0x1
	buffer_atomic_pk_add_f16 v9, v1, s[12:15], null offen offset:8
	buffer_atomic_pk_add_f16 v10, v1, s[12:15], s2 offen offset:8
	s_wait_dscnt 0x0
	s_barrier_signal -1
	s_barrier_wait -1
	ds_store_b16 v66, v0
	ds_store_b16 v66, v2 offset:256
	ds_store_b16 v66, v3 offset:512
	;; [unrolled: 1-line block ×7, first 2 shown]
	s_wait_dscnt 0x0
	s_barrier_signal -1
	s_barrier_wait -1
	ds_load_b64 v[0:1], v65
	v_cmp_gt_i32_e64 s1, s4, v11
	v_add_nc_u32_e32 v2, s3, v12
	s_and_b32 s3, vcc_lo, s1
	s_and_b32 s0, s1, s0
	s_wait_alu 0xfffe
	v_cndmask_b32_e64 v3, 0x80000000, 0, s3
	s_delay_alu instid0(VALU_DEP_1)
	v_add_nc_u32_e32 v3, v3, v2
	s_wait_dscnt 0x0
	s_clause 0x1
	buffer_atomic_pk_add_f16 v0, v3, s[12:15], null offen
	buffer_atomic_pk_add_f16 v1, v3, s[12:15], s2 offen
	ds_load_b64 v[0:1], v65 offset:8
	v_cndmask_b32_e64 v3, 0x80000000, 0, s0
	s_delay_alu instid0(VALU_DEP_1)
	v_add_nc_u32_e32 v2, v2, v3
	s_wait_dscnt 0x0
	s_clause 0x1
	buffer_atomic_pk_add_f16 v0, v2, s[12:15], null offen offset:8
	buffer_atomic_pk_add_f16 v1, v2, s[12:15], s2 offen offset:8
	s_nop 0
	s_sendmsg sendmsg(MSG_DEALLOC_VGPRS)
	s_endpgm
	.section	.rodata,"a",@progbits
	.p2align	6, 0x0
	.amdhsa_kernel _ZN2ck27kernel_gemm_xdl_cshuffle_v3INS_28GridwiseGemm_xdl_cshuffle_v3INS_13tensor_layout4gemm8RowMajorENS3_11ColumnMajorES4_DF16_NS_7pk_i4_tEfDF16_DF16_NS_16tensor_operation12element_wise11PassThroughES9_S9_LNS7_6device18GemmSpecializationE0ELi256ELi1ELi128ELi128ELi128ELi64ELi8ELi16ELi16ELi16ELi8ELi1ENS_8SequenceIJLi8ELi32ELi1EEEENSC_IJLi1ELi0ELi2EEEESE_Li2ELi8ELi8ELb0ELi0ENSC_IJLi2ELi128ELi1EEEESE_SE_Li2ELi16ELi16ELb0ELi0ELi1ELi1ENSC_IJLi1ELi16ELi1ELi16EEEELi4ELNS_26BlockGemmPipelineSchedulerE0ELNS_24BlockGemmPipelineVersionE2EDF16_DF16_Lb0ELb1EEELb1ELNS_25InMemoryDataOperationEnumE1ELi2ELNS_10TailNumberE10EEEvNT_8ArgumentE
		.amdhsa_group_segment_fixed_size 20480
		.amdhsa_private_segment_fixed_size 16
		.amdhsa_kernarg_size 120
		.amdhsa_user_sgpr_count 2
		.amdhsa_user_sgpr_dispatch_ptr 0
		.amdhsa_user_sgpr_queue_ptr 0
		.amdhsa_user_sgpr_kernarg_segment_ptr 1
		.amdhsa_user_sgpr_dispatch_id 0
		.amdhsa_user_sgpr_private_segment_size 0
		.amdhsa_wavefront_size32 1
		.amdhsa_uses_dynamic_stack 0
		.amdhsa_enable_private_segment 1
		.amdhsa_system_sgpr_workgroup_id_x 1
		.amdhsa_system_sgpr_workgroup_id_y 0
		.amdhsa_system_sgpr_workgroup_id_z 1
		.amdhsa_system_sgpr_workgroup_info 0
		.amdhsa_system_vgpr_workitem_id 0
		.amdhsa_next_free_vgpr 256
		.amdhsa_next_free_sgpr 34
		.amdhsa_reserve_vcc 1
		.amdhsa_float_round_mode_32 0
		.amdhsa_float_round_mode_16_64 0
		.amdhsa_float_denorm_mode_32 3
		.amdhsa_float_denorm_mode_16_64 3
		.amdhsa_fp16_overflow 0
		.amdhsa_workgroup_processor_mode 1
		.amdhsa_memory_ordered 1
		.amdhsa_forward_progress 1
		.amdhsa_inst_pref_size 57
		.amdhsa_round_robin_scheduling 0
		.amdhsa_exception_fp_ieee_invalid_op 0
		.amdhsa_exception_fp_denorm_src 0
		.amdhsa_exception_fp_ieee_div_zero 0
		.amdhsa_exception_fp_ieee_overflow 0
		.amdhsa_exception_fp_ieee_underflow 0
		.amdhsa_exception_fp_ieee_inexact 0
		.amdhsa_exception_int_div_zero 0
	.end_amdhsa_kernel
	.section	.text._ZN2ck27kernel_gemm_xdl_cshuffle_v3INS_28GridwiseGemm_xdl_cshuffle_v3INS_13tensor_layout4gemm8RowMajorENS3_11ColumnMajorES4_DF16_NS_7pk_i4_tEfDF16_DF16_NS_16tensor_operation12element_wise11PassThroughES9_S9_LNS7_6device18GemmSpecializationE0ELi256ELi1ELi128ELi128ELi128ELi64ELi8ELi16ELi16ELi16ELi8ELi1ENS_8SequenceIJLi8ELi32ELi1EEEENSC_IJLi1ELi0ELi2EEEESE_Li2ELi8ELi8ELb0ELi0ENSC_IJLi2ELi128ELi1EEEESE_SE_Li2ELi16ELi16ELb0ELi0ELi1ELi1ENSC_IJLi1ELi16ELi1ELi16EEEELi4ELNS_26BlockGemmPipelineSchedulerE0ELNS_24BlockGemmPipelineVersionE2EDF16_DF16_Lb0ELb1EEELb1ELNS_25InMemoryDataOperationEnumE1ELi2ELNS_10TailNumberE10EEEvNT_8ArgumentE,"axG",@progbits,_ZN2ck27kernel_gemm_xdl_cshuffle_v3INS_28GridwiseGemm_xdl_cshuffle_v3INS_13tensor_layout4gemm8RowMajorENS3_11ColumnMajorES4_DF16_NS_7pk_i4_tEfDF16_DF16_NS_16tensor_operation12element_wise11PassThroughES9_S9_LNS7_6device18GemmSpecializationE0ELi256ELi1ELi128ELi128ELi128ELi64ELi8ELi16ELi16ELi16ELi8ELi1ENS_8SequenceIJLi8ELi32ELi1EEEENSC_IJLi1ELi0ELi2EEEESE_Li2ELi8ELi8ELb0ELi0ENSC_IJLi2ELi128ELi1EEEESE_SE_Li2ELi16ELi16ELb0ELi0ELi1ELi1ENSC_IJLi1ELi16ELi1ELi16EEEELi4ELNS_26BlockGemmPipelineSchedulerE0ELNS_24BlockGemmPipelineVersionE2EDF16_DF16_Lb0ELb1EEELb1ELNS_25InMemoryDataOperationEnumE1ELi2ELNS_10TailNumberE10EEEvNT_8ArgumentE,comdat
.Lfunc_end3:
	.size	_ZN2ck27kernel_gemm_xdl_cshuffle_v3INS_28GridwiseGemm_xdl_cshuffle_v3INS_13tensor_layout4gemm8RowMajorENS3_11ColumnMajorES4_DF16_NS_7pk_i4_tEfDF16_DF16_NS_16tensor_operation12element_wise11PassThroughES9_S9_LNS7_6device18GemmSpecializationE0ELi256ELi1ELi128ELi128ELi128ELi64ELi8ELi16ELi16ELi16ELi8ELi1ENS_8SequenceIJLi8ELi32ELi1EEEENSC_IJLi1ELi0ELi2EEEESE_Li2ELi8ELi8ELb0ELi0ENSC_IJLi2ELi128ELi1EEEESE_SE_Li2ELi16ELi16ELb0ELi0ELi1ELi1ENSC_IJLi1ELi16ELi1ELi16EEEELi4ELNS_26BlockGemmPipelineSchedulerE0ELNS_24BlockGemmPipelineVersionE2EDF16_DF16_Lb0ELb1EEELb1ELNS_25InMemoryDataOperationEnumE1ELi2ELNS_10TailNumberE10EEEvNT_8ArgumentE, .Lfunc_end3-_ZN2ck27kernel_gemm_xdl_cshuffle_v3INS_28GridwiseGemm_xdl_cshuffle_v3INS_13tensor_layout4gemm8RowMajorENS3_11ColumnMajorES4_DF16_NS_7pk_i4_tEfDF16_DF16_NS_16tensor_operation12element_wise11PassThroughES9_S9_LNS7_6device18GemmSpecializationE0ELi256ELi1ELi128ELi128ELi128ELi64ELi8ELi16ELi16ELi16ELi8ELi1ENS_8SequenceIJLi8ELi32ELi1EEEENSC_IJLi1ELi0ELi2EEEESE_Li2ELi8ELi8ELb0ELi0ENSC_IJLi2ELi128ELi1EEEESE_SE_Li2ELi16ELi16ELb0ELi0ELi1ELi1ENSC_IJLi1ELi16ELi1ELi16EEEELi4ELNS_26BlockGemmPipelineSchedulerE0ELNS_24BlockGemmPipelineVersionE2EDF16_DF16_Lb0ELb1EEELb1ELNS_25InMemoryDataOperationEnumE1ELi2ELNS_10TailNumberE10EEEvNT_8ArgumentE
                                        ; -- End function
	.set _ZN2ck27kernel_gemm_xdl_cshuffle_v3INS_28GridwiseGemm_xdl_cshuffle_v3INS_13tensor_layout4gemm8RowMajorENS3_11ColumnMajorES4_DF16_NS_7pk_i4_tEfDF16_DF16_NS_16tensor_operation12element_wise11PassThroughES9_S9_LNS7_6device18GemmSpecializationE0ELi256ELi1ELi128ELi128ELi128ELi64ELi8ELi16ELi16ELi16ELi8ELi1ENS_8SequenceIJLi8ELi32ELi1EEEENSC_IJLi1ELi0ELi2EEEESE_Li2ELi8ELi8ELb0ELi0ENSC_IJLi2ELi128ELi1EEEESE_SE_Li2ELi16ELi16ELb0ELi0ELi1ELi1ENSC_IJLi1ELi16ELi1ELi16EEEELi4ELNS_26BlockGemmPipelineSchedulerE0ELNS_24BlockGemmPipelineVersionE2EDF16_DF16_Lb0ELb1EEELb1ELNS_25InMemoryDataOperationEnumE1ELi2ELNS_10TailNumberE10EEEvNT_8ArgumentE.num_vgpr, 256
	.set _ZN2ck27kernel_gemm_xdl_cshuffle_v3INS_28GridwiseGemm_xdl_cshuffle_v3INS_13tensor_layout4gemm8RowMajorENS3_11ColumnMajorES4_DF16_NS_7pk_i4_tEfDF16_DF16_NS_16tensor_operation12element_wise11PassThroughES9_S9_LNS7_6device18GemmSpecializationE0ELi256ELi1ELi128ELi128ELi128ELi64ELi8ELi16ELi16ELi16ELi8ELi1ENS_8SequenceIJLi8ELi32ELi1EEEENSC_IJLi1ELi0ELi2EEEESE_Li2ELi8ELi8ELb0ELi0ENSC_IJLi2ELi128ELi1EEEESE_SE_Li2ELi16ELi16ELb0ELi0ELi1ELi1ENSC_IJLi1ELi16ELi1ELi16EEEELi4ELNS_26BlockGemmPipelineSchedulerE0ELNS_24BlockGemmPipelineVersionE2EDF16_DF16_Lb0ELb1EEELb1ELNS_25InMemoryDataOperationEnumE1ELi2ELNS_10TailNumberE10EEEvNT_8ArgumentE.num_agpr, 0
	.set _ZN2ck27kernel_gemm_xdl_cshuffle_v3INS_28GridwiseGemm_xdl_cshuffle_v3INS_13tensor_layout4gemm8RowMajorENS3_11ColumnMajorES4_DF16_NS_7pk_i4_tEfDF16_DF16_NS_16tensor_operation12element_wise11PassThroughES9_S9_LNS7_6device18GemmSpecializationE0ELi256ELi1ELi128ELi128ELi128ELi64ELi8ELi16ELi16ELi16ELi8ELi1ENS_8SequenceIJLi8ELi32ELi1EEEENSC_IJLi1ELi0ELi2EEEESE_Li2ELi8ELi8ELb0ELi0ENSC_IJLi2ELi128ELi1EEEESE_SE_Li2ELi16ELi16ELb0ELi0ELi1ELi1ENSC_IJLi1ELi16ELi1ELi16EEEELi4ELNS_26BlockGemmPipelineSchedulerE0ELNS_24BlockGemmPipelineVersionE2EDF16_DF16_Lb0ELb1EEELb1ELNS_25InMemoryDataOperationEnumE1ELi2ELNS_10TailNumberE10EEEvNT_8ArgumentE.numbered_sgpr, 34
	.set _ZN2ck27kernel_gemm_xdl_cshuffle_v3INS_28GridwiseGemm_xdl_cshuffle_v3INS_13tensor_layout4gemm8RowMajorENS3_11ColumnMajorES4_DF16_NS_7pk_i4_tEfDF16_DF16_NS_16tensor_operation12element_wise11PassThroughES9_S9_LNS7_6device18GemmSpecializationE0ELi256ELi1ELi128ELi128ELi128ELi64ELi8ELi16ELi16ELi16ELi8ELi1ENS_8SequenceIJLi8ELi32ELi1EEEENSC_IJLi1ELi0ELi2EEEESE_Li2ELi8ELi8ELb0ELi0ENSC_IJLi2ELi128ELi1EEEESE_SE_Li2ELi16ELi16ELb0ELi0ELi1ELi1ENSC_IJLi1ELi16ELi1ELi16EEEELi4ELNS_26BlockGemmPipelineSchedulerE0ELNS_24BlockGemmPipelineVersionE2EDF16_DF16_Lb0ELb1EEELb1ELNS_25InMemoryDataOperationEnumE1ELi2ELNS_10TailNumberE10EEEvNT_8ArgumentE.num_named_barrier, 0
	.set _ZN2ck27kernel_gemm_xdl_cshuffle_v3INS_28GridwiseGemm_xdl_cshuffle_v3INS_13tensor_layout4gemm8RowMajorENS3_11ColumnMajorES4_DF16_NS_7pk_i4_tEfDF16_DF16_NS_16tensor_operation12element_wise11PassThroughES9_S9_LNS7_6device18GemmSpecializationE0ELi256ELi1ELi128ELi128ELi128ELi64ELi8ELi16ELi16ELi16ELi8ELi1ENS_8SequenceIJLi8ELi32ELi1EEEENSC_IJLi1ELi0ELi2EEEESE_Li2ELi8ELi8ELb0ELi0ENSC_IJLi2ELi128ELi1EEEESE_SE_Li2ELi16ELi16ELb0ELi0ELi1ELi1ENSC_IJLi1ELi16ELi1ELi16EEEELi4ELNS_26BlockGemmPipelineSchedulerE0ELNS_24BlockGemmPipelineVersionE2EDF16_DF16_Lb0ELb1EEELb1ELNS_25InMemoryDataOperationEnumE1ELi2ELNS_10TailNumberE10EEEvNT_8ArgumentE.private_seg_size, 16
	.set _ZN2ck27kernel_gemm_xdl_cshuffle_v3INS_28GridwiseGemm_xdl_cshuffle_v3INS_13tensor_layout4gemm8RowMajorENS3_11ColumnMajorES4_DF16_NS_7pk_i4_tEfDF16_DF16_NS_16tensor_operation12element_wise11PassThroughES9_S9_LNS7_6device18GemmSpecializationE0ELi256ELi1ELi128ELi128ELi128ELi64ELi8ELi16ELi16ELi16ELi8ELi1ENS_8SequenceIJLi8ELi32ELi1EEEENSC_IJLi1ELi0ELi2EEEESE_Li2ELi8ELi8ELb0ELi0ENSC_IJLi2ELi128ELi1EEEESE_SE_Li2ELi16ELi16ELb0ELi0ELi1ELi1ENSC_IJLi1ELi16ELi1ELi16EEEELi4ELNS_26BlockGemmPipelineSchedulerE0ELNS_24BlockGemmPipelineVersionE2EDF16_DF16_Lb0ELb1EEELb1ELNS_25InMemoryDataOperationEnumE1ELi2ELNS_10TailNumberE10EEEvNT_8ArgumentE.uses_vcc, 1
	.set _ZN2ck27kernel_gemm_xdl_cshuffle_v3INS_28GridwiseGemm_xdl_cshuffle_v3INS_13tensor_layout4gemm8RowMajorENS3_11ColumnMajorES4_DF16_NS_7pk_i4_tEfDF16_DF16_NS_16tensor_operation12element_wise11PassThroughES9_S9_LNS7_6device18GemmSpecializationE0ELi256ELi1ELi128ELi128ELi128ELi64ELi8ELi16ELi16ELi16ELi8ELi1ENS_8SequenceIJLi8ELi32ELi1EEEENSC_IJLi1ELi0ELi2EEEESE_Li2ELi8ELi8ELb0ELi0ENSC_IJLi2ELi128ELi1EEEESE_SE_Li2ELi16ELi16ELb0ELi0ELi1ELi1ENSC_IJLi1ELi16ELi1ELi16EEEELi4ELNS_26BlockGemmPipelineSchedulerE0ELNS_24BlockGemmPipelineVersionE2EDF16_DF16_Lb0ELb1EEELb1ELNS_25InMemoryDataOperationEnumE1ELi2ELNS_10TailNumberE10EEEvNT_8ArgumentE.uses_flat_scratch, 0
	.set _ZN2ck27kernel_gemm_xdl_cshuffle_v3INS_28GridwiseGemm_xdl_cshuffle_v3INS_13tensor_layout4gemm8RowMajorENS3_11ColumnMajorES4_DF16_NS_7pk_i4_tEfDF16_DF16_NS_16tensor_operation12element_wise11PassThroughES9_S9_LNS7_6device18GemmSpecializationE0ELi256ELi1ELi128ELi128ELi128ELi64ELi8ELi16ELi16ELi16ELi8ELi1ENS_8SequenceIJLi8ELi32ELi1EEEENSC_IJLi1ELi0ELi2EEEESE_Li2ELi8ELi8ELb0ELi0ENSC_IJLi2ELi128ELi1EEEESE_SE_Li2ELi16ELi16ELb0ELi0ELi1ELi1ENSC_IJLi1ELi16ELi1ELi16EEEELi4ELNS_26BlockGemmPipelineSchedulerE0ELNS_24BlockGemmPipelineVersionE2EDF16_DF16_Lb0ELb1EEELb1ELNS_25InMemoryDataOperationEnumE1ELi2ELNS_10TailNumberE10EEEvNT_8ArgumentE.has_dyn_sized_stack, 0
	.set _ZN2ck27kernel_gemm_xdl_cshuffle_v3INS_28GridwiseGemm_xdl_cshuffle_v3INS_13tensor_layout4gemm8RowMajorENS3_11ColumnMajorES4_DF16_NS_7pk_i4_tEfDF16_DF16_NS_16tensor_operation12element_wise11PassThroughES9_S9_LNS7_6device18GemmSpecializationE0ELi256ELi1ELi128ELi128ELi128ELi64ELi8ELi16ELi16ELi16ELi8ELi1ENS_8SequenceIJLi8ELi32ELi1EEEENSC_IJLi1ELi0ELi2EEEESE_Li2ELi8ELi8ELb0ELi0ENSC_IJLi2ELi128ELi1EEEESE_SE_Li2ELi16ELi16ELb0ELi0ELi1ELi1ENSC_IJLi1ELi16ELi1ELi16EEEELi4ELNS_26BlockGemmPipelineSchedulerE0ELNS_24BlockGemmPipelineVersionE2EDF16_DF16_Lb0ELb1EEELb1ELNS_25InMemoryDataOperationEnumE1ELi2ELNS_10TailNumberE10EEEvNT_8ArgumentE.has_recursion, 0
	.set _ZN2ck27kernel_gemm_xdl_cshuffle_v3INS_28GridwiseGemm_xdl_cshuffle_v3INS_13tensor_layout4gemm8RowMajorENS3_11ColumnMajorES4_DF16_NS_7pk_i4_tEfDF16_DF16_NS_16tensor_operation12element_wise11PassThroughES9_S9_LNS7_6device18GemmSpecializationE0ELi256ELi1ELi128ELi128ELi128ELi64ELi8ELi16ELi16ELi16ELi8ELi1ENS_8SequenceIJLi8ELi32ELi1EEEENSC_IJLi1ELi0ELi2EEEESE_Li2ELi8ELi8ELb0ELi0ENSC_IJLi2ELi128ELi1EEEESE_SE_Li2ELi16ELi16ELb0ELi0ELi1ELi1ENSC_IJLi1ELi16ELi1ELi16EEEELi4ELNS_26BlockGemmPipelineSchedulerE0ELNS_24BlockGemmPipelineVersionE2EDF16_DF16_Lb0ELb1EEELb1ELNS_25InMemoryDataOperationEnumE1ELi2ELNS_10TailNumberE10EEEvNT_8ArgumentE.has_indirect_call, 0
	.section	.AMDGPU.csdata,"",@progbits
; Kernel info:
; codeLenInByte = 7268
; TotalNumSgprs: 36
; NumVgprs: 256
; ScratchSize: 16
; MemoryBound: 0
; FloatMode: 240
; IeeeMode: 1
; LDSByteSize: 20480 bytes/workgroup (compile time only)
; SGPRBlocks: 0
; VGPRBlocks: 31
; NumSGPRsForWavesPerEU: 36
; NumVGPRsForWavesPerEU: 256
; Occupancy: 5
; WaveLimiterHint : 0
; COMPUTE_PGM_RSRC2:SCRATCH_EN: 1
; COMPUTE_PGM_RSRC2:USER_SGPR: 2
; COMPUTE_PGM_RSRC2:TRAP_HANDLER: 0
; COMPUTE_PGM_RSRC2:TGID_X_EN: 1
; COMPUTE_PGM_RSRC2:TGID_Y_EN: 0
; COMPUTE_PGM_RSRC2:TGID_Z_EN: 1
; COMPUTE_PGM_RSRC2:TIDIG_COMP_CNT: 0
	.section	.text._ZN2ck27kernel_gemm_xdl_cshuffle_v3INS_28GridwiseGemm_xdl_cshuffle_v3INS_13tensor_layout4gemm8RowMajorENS3_11ColumnMajorES4_DF16_NS_7pk_i4_tEfDF16_DF16_NS_16tensor_operation12element_wise11PassThroughES9_S9_LNS7_6device18GemmSpecializationE0ELi256ELi1ELi128ELi128ELi128ELi64ELi8ELi16ELi16ELi16ELi8ELi1ENS_8SequenceIJLi8ELi32ELi1EEEENSC_IJLi1ELi0ELi2EEEESE_Li2ELi8ELi8ELb0ELi0ENSC_IJLi2ELi128ELi1EEEESE_SE_Li2ELi16ELi16ELb0ELi0ELi1ELi1ENSC_IJLi1ELi16ELi1ELi16EEEELi4ELNS_26BlockGemmPipelineSchedulerE0ELNS_24BlockGemmPipelineVersionE2EDF16_DF16_Lb0ELb1EEELb1ELNS_25InMemoryDataOperationEnumE0ELi2ELNS_10TailNumberE10EEEvNT_8ArgumentE,"axG",@progbits,_ZN2ck27kernel_gemm_xdl_cshuffle_v3INS_28GridwiseGemm_xdl_cshuffle_v3INS_13tensor_layout4gemm8RowMajorENS3_11ColumnMajorES4_DF16_NS_7pk_i4_tEfDF16_DF16_NS_16tensor_operation12element_wise11PassThroughES9_S9_LNS7_6device18GemmSpecializationE0ELi256ELi1ELi128ELi128ELi128ELi64ELi8ELi16ELi16ELi16ELi8ELi1ENS_8SequenceIJLi8ELi32ELi1EEEENSC_IJLi1ELi0ELi2EEEESE_Li2ELi8ELi8ELb0ELi0ENSC_IJLi2ELi128ELi1EEEESE_SE_Li2ELi16ELi16ELb0ELi0ELi1ELi1ENSC_IJLi1ELi16ELi1ELi16EEEELi4ELNS_26BlockGemmPipelineSchedulerE0ELNS_24BlockGemmPipelineVersionE2EDF16_DF16_Lb0ELb1EEELb1ELNS_25InMemoryDataOperationEnumE0ELi2ELNS_10TailNumberE10EEEvNT_8ArgumentE,comdat
	.protected	_ZN2ck27kernel_gemm_xdl_cshuffle_v3INS_28GridwiseGemm_xdl_cshuffle_v3INS_13tensor_layout4gemm8RowMajorENS3_11ColumnMajorES4_DF16_NS_7pk_i4_tEfDF16_DF16_NS_16tensor_operation12element_wise11PassThroughES9_S9_LNS7_6device18GemmSpecializationE0ELi256ELi1ELi128ELi128ELi128ELi64ELi8ELi16ELi16ELi16ELi8ELi1ENS_8SequenceIJLi8ELi32ELi1EEEENSC_IJLi1ELi0ELi2EEEESE_Li2ELi8ELi8ELb0ELi0ENSC_IJLi2ELi128ELi1EEEESE_SE_Li2ELi16ELi16ELb0ELi0ELi1ELi1ENSC_IJLi1ELi16ELi1ELi16EEEELi4ELNS_26BlockGemmPipelineSchedulerE0ELNS_24BlockGemmPipelineVersionE2EDF16_DF16_Lb0ELb1EEELb1ELNS_25InMemoryDataOperationEnumE0ELi2ELNS_10TailNumberE10EEEvNT_8ArgumentE ; -- Begin function _ZN2ck27kernel_gemm_xdl_cshuffle_v3INS_28GridwiseGemm_xdl_cshuffle_v3INS_13tensor_layout4gemm8RowMajorENS3_11ColumnMajorES4_DF16_NS_7pk_i4_tEfDF16_DF16_NS_16tensor_operation12element_wise11PassThroughES9_S9_LNS7_6device18GemmSpecializationE0ELi256ELi1ELi128ELi128ELi128ELi64ELi8ELi16ELi16ELi16ELi8ELi1ENS_8SequenceIJLi8ELi32ELi1EEEENSC_IJLi1ELi0ELi2EEEESE_Li2ELi8ELi8ELb0ELi0ENSC_IJLi2ELi128ELi1EEEESE_SE_Li2ELi16ELi16ELb0ELi0ELi1ELi1ENSC_IJLi1ELi16ELi1ELi16EEEELi4ELNS_26BlockGemmPipelineSchedulerE0ELNS_24BlockGemmPipelineVersionE2EDF16_DF16_Lb0ELb1EEELb1ELNS_25InMemoryDataOperationEnumE0ELi2ELNS_10TailNumberE10EEEvNT_8ArgumentE
	.globl	_ZN2ck27kernel_gemm_xdl_cshuffle_v3INS_28GridwiseGemm_xdl_cshuffle_v3INS_13tensor_layout4gemm8RowMajorENS3_11ColumnMajorES4_DF16_NS_7pk_i4_tEfDF16_DF16_NS_16tensor_operation12element_wise11PassThroughES9_S9_LNS7_6device18GemmSpecializationE0ELi256ELi1ELi128ELi128ELi128ELi64ELi8ELi16ELi16ELi16ELi8ELi1ENS_8SequenceIJLi8ELi32ELi1EEEENSC_IJLi1ELi0ELi2EEEESE_Li2ELi8ELi8ELb0ELi0ENSC_IJLi2ELi128ELi1EEEESE_SE_Li2ELi16ELi16ELb0ELi0ELi1ELi1ENSC_IJLi1ELi16ELi1ELi16EEEELi4ELNS_26BlockGemmPipelineSchedulerE0ELNS_24BlockGemmPipelineVersionE2EDF16_DF16_Lb0ELb1EEELb1ELNS_25InMemoryDataOperationEnumE0ELi2ELNS_10TailNumberE10EEEvNT_8ArgumentE
	.p2align	8
	.type	_ZN2ck27kernel_gemm_xdl_cshuffle_v3INS_28GridwiseGemm_xdl_cshuffle_v3INS_13tensor_layout4gemm8RowMajorENS3_11ColumnMajorES4_DF16_NS_7pk_i4_tEfDF16_DF16_NS_16tensor_operation12element_wise11PassThroughES9_S9_LNS7_6device18GemmSpecializationE0ELi256ELi1ELi128ELi128ELi128ELi64ELi8ELi16ELi16ELi16ELi8ELi1ENS_8SequenceIJLi8ELi32ELi1EEEENSC_IJLi1ELi0ELi2EEEESE_Li2ELi8ELi8ELb0ELi0ENSC_IJLi2ELi128ELi1EEEESE_SE_Li2ELi16ELi16ELb0ELi0ELi1ELi1ENSC_IJLi1ELi16ELi1ELi16EEEELi4ELNS_26BlockGemmPipelineSchedulerE0ELNS_24BlockGemmPipelineVersionE2EDF16_DF16_Lb0ELb1EEELb1ELNS_25InMemoryDataOperationEnumE0ELi2ELNS_10TailNumberE10EEEvNT_8ArgumentE,@function
_ZN2ck27kernel_gemm_xdl_cshuffle_v3INS_28GridwiseGemm_xdl_cshuffle_v3INS_13tensor_layout4gemm8RowMajorENS3_11ColumnMajorES4_DF16_NS_7pk_i4_tEfDF16_DF16_NS_16tensor_operation12element_wise11PassThroughES9_S9_LNS7_6device18GemmSpecializationE0ELi256ELi1ELi128ELi128ELi128ELi64ELi8ELi16ELi16ELi16ELi8ELi1ENS_8SequenceIJLi8ELi32ELi1EEEENSC_IJLi1ELi0ELi2EEEESE_Li2ELi8ELi8ELb0ELi0ENSC_IJLi2ELi128ELi1EEEESE_SE_Li2ELi16ELi16ELb0ELi0ELi1ELi1ENSC_IJLi1ELi16ELi1ELi16EEEELi4ELNS_26BlockGemmPipelineSchedulerE0ELNS_24BlockGemmPipelineVersionE2EDF16_DF16_Lb0ELb1EEELb1ELNS_25InMemoryDataOperationEnumE0ELi2ELNS_10TailNumberE10EEEvNT_8ArgumentE: ; @_ZN2ck27kernel_gemm_xdl_cshuffle_v3INS_28GridwiseGemm_xdl_cshuffle_v3INS_13tensor_layout4gemm8RowMajorENS3_11ColumnMajorES4_DF16_NS_7pk_i4_tEfDF16_DF16_NS_16tensor_operation12element_wise11PassThroughES9_S9_LNS7_6device18GemmSpecializationE0ELi256ELi1ELi128ELi128ELi128ELi64ELi8ELi16ELi16ELi16ELi8ELi1ENS_8SequenceIJLi8ELi32ELi1EEEENSC_IJLi1ELi0ELi2EEEESE_Li2ELi8ELi8ELb0ELi0ENSC_IJLi2ELi128ELi1EEEESE_SE_Li2ELi16ELi16ELb0ELi0ELi1ELi1ENSC_IJLi1ELi16ELi1ELi16EEEELi4ELNS_26BlockGemmPipelineSchedulerE0ELNS_24BlockGemmPipelineVersionE2EDF16_DF16_Lb0ELb1EEELb1ELNS_25InMemoryDataOperationEnumE0ELi2ELNS_10TailNumberE10EEEvNT_8ArgumentE
; %bb.0:
	v_mov_b32_e32 v1, 0
	s_clause 0x1
	s_load_b256 s[4:11], s[0:1], 0x10
	s_load_b32 s22, s[0:1], 0x40
	s_lshr_b32 s2, ttmp7, 16
	s_mov_b32 s23, ttmp9
	global_load_u8 v1, v1, s[0:1] offset:115
	s_mov_b64 s[26:27], 0
	s_wait_kmcnt 0x0
	s_cmp_gt_i32 s11, 1
	s_cselect_b32 s3, -1, 0
	s_wait_loadcnt 0x0
	v_and_b32_e32 v1, 1, v1
	s_delay_alu instid0(VALU_DEP_1) | instskip(SKIP_1) | instid1(SALU_CYCLE_1)
	v_cmp_eq_u32_e32 vcc_lo, 1, v1
	s_and_b32 s3, s3, vcc_lo
	s_and_not1_b32 vcc_lo, exec_lo, s3
	s_cbranch_vccnz .LBB4_2
; %bb.1:
	s_mul_i32 s3, s4, s2
	s_delay_alu instid0(SALU_CYCLE_1) | instskip(NEXT) | instid1(SALU_CYCLE_1)
	s_mul_i32 s26, s3, s5
	s_ashr_i32 s27, s26, 31
.LBB4_2:
	s_clause 0x1
	s_load_b32 s3, s[0:1], 0x38
	s_load_b256 s[12:19], s[0:1], 0x50
	s_add_co_i32 s25, s4, -1
	s_mov_b32 s24, 0
	s_cmp_lt_u32 s25, 0x80
	s_cbranch_scc1 .LBB4_6
; %bb.3:
	s_add_co_i32 s0, s5, -1
	s_delay_alu instid0(SALU_CYCLE_1)
	s_cmp_lt_u32 s0, 0x80
	s_mov_b32 s0, 0
	s_cbranch_scc1 .LBB4_10
; %bb.4:
	s_add_co_i32 s0, s4, 0x7f
	s_add_co_i32 s1, s5, 0x7f
	s_ashr_i32 s20, s0, 31
	s_ashr_i32 s21, s1, 31
	s_lshr_b32 s20, s20, 25
	s_lshr_b32 s21, s21, 25
	s_add_co_i32 s0, s0, s20
	s_add_co_i32 s20, s1, s21
	s_ashr_i32 s1, s0, 7
	s_ashr_i32 s0, s20, 7
	;; [unrolled: 1-line block ×3, first 2 shown]
	s_mul_i32 s20, s0, s1
	s_delay_alu instid0(SALU_CYCLE_1) | instskip(NEXT) | instid1(SALU_CYCLE_1)
	s_add_co_i32 s21, s20, 7
	s_ashr_i32 s28, s21, 31
	s_delay_alu instid0(SALU_CYCLE_1) | instskip(NEXT) | instid1(SALU_CYCLE_1)
	s_lshr_b32 s28, s28, 29
	s_add_co_i32 s28, s21, s28
	s_lshr_b32 s21, s29, 29
	s_and_b32 s30, s28, -8
	s_add_co_i32 s29, s23, s21
	s_sub_co_i32 s21, s20, s30
	s_and_b32 s20, s29, -8
	s_add_co_i32 s21, s21, 8
	s_sub_co_i32 s23, s23, s20
	s_ashr_i32 s28, s28, 3
	s_cmp_gt_i32 s23, s21
	s_cbranch_scc1 .LBB4_7
; %bb.5:
	s_mul_i32 s20, s28, s23
	s_ashr_i32 s29, s29, 3
	s_cbranch_execz .LBB4_8
	s_branch .LBB4_9
.LBB4_6:
	s_mov_b32 s28, s24
	s_branch .LBB4_11
.LBB4_7:
                                        ; implicit-def: $sgpr20
	s_ashr_i32 s29, s29, 3
.LBB4_8:
	s_add_co_i32 s20, s28, -1
	s_delay_alu instid0(SALU_CYCLE_1) | instskip(NEXT) | instid1(SALU_CYCLE_1)
	s_mul_i32 s20, s20, s23
	s_add_co_i32 s20, s21, s20
.LBB4_9:
	s_abs_i32 s21, s0
	s_add_co_i32 s20, s20, s29
	s_cvt_f32_u32 s23, s21
	s_sub_co_i32 s28, 0, s21
	s_abs_i32 s29, s20
	s_delay_alu instid0(SALU_CYCLE_1) | instskip(NEXT) | instid1(TRANS32_DEP_1)
	v_rcp_iflag_f32_e32 v1, s23
	v_readfirstlane_b32 s23, v1
	s_mul_f32 s23, s23, 0x4f7ffffe
	s_wait_alu 0xfffe
	s_delay_alu instid0(SALU_CYCLE_2) | instskip(SKIP_1) | instid1(SALU_CYCLE_2)
	s_cvt_u32_f32 s23, s23
	s_wait_alu 0xfffe
	s_mul_i32 s28, s28, s23
	s_delay_alu instid0(SALU_CYCLE_1) | instskip(NEXT) | instid1(SALU_CYCLE_1)
	s_mul_hi_u32 s28, s23, s28
	s_add_co_i32 s23, s23, s28
	s_xor_b32 s28, s20, s0
	s_wait_alu 0xfffe
	s_mul_hi_u32 s23, s29, s23
	s_ashr_i32 s28, s28, 31
	s_wait_alu 0xfffe
	s_mul_i32 s30, s23, s21
	s_delay_alu instid0(SALU_CYCLE_1)
	s_sub_co_i32 s29, s29, s30
	s_add_co_i32 s30, s23, 1
	s_sub_co_i32 s31, s29, s21
	s_cmp_ge_u32 s29, s21
	s_cselect_b32 s23, s30, s23
	s_cselect_b32 s29, s31, s29
	s_wait_alu 0xfffe
	s_add_co_i32 s30, s23, 1
	s_cmp_ge_u32 s29, s21
	s_cselect_b32 s21, s30, s23
	s_lshr_b32 s23, s1, 30
	s_xor_b32 s21, s21, s28
	s_wait_alu 0xfffe
	s_add_co_i32 s23, s1, s23
	s_sub_co_i32 s21, s21, s28
	s_wait_alu 0xfffe
	s_and_b32 s23, s23, -4
	s_mul_i32 s28, s21, s0
	s_wait_alu 0xfffe
	s_sub_co_i32 s1, s1, s23
	s_sub_co_i32 s20, s20, s28
	s_cmp_ge_i32 s21, s23
	s_cselect_b32 s1, s1, 4
	s_ashr_i32 s29, s21, 31
	s_abs_i32 s23, s1
	s_lshr_b32 s29, s29, 30
	s_wait_alu 0xfffe
	s_cvt_f32_u32 s28, s23
	s_add_co_i32 s29, s21, s29
	s_sub_co_i32 s30, 0, s23
	s_and_b32 s29, s29, -4
	v_rcp_iflag_f32_e32 v1, s28
	s_sub_co_i32 s29, s21, s29
	s_wait_alu 0xfffe
	s_mul_i32 s0, s29, s0
	s_delay_alu instid0(SALU_CYCLE_1) | instskip(NEXT) | instid1(TRANS32_DEP_1)
	s_add_co_i32 s20, s0, s20
	v_readfirstlane_b32 s28, v1
	s_mul_f32 s28, s28, 0x4f7ffffe
	s_wait_alu 0xfffe
	s_delay_alu instid0(SALU_CYCLE_2) | instskip(SKIP_1) | instid1(SALU_CYCLE_2)
	s_cvt_u32_f32 s28, s28
	s_wait_alu 0xfffe
	s_mul_i32 s30, s30, s28
	s_delay_alu instid0(SALU_CYCLE_1)
	s_mul_hi_u32 s0, s28, s30
	s_abs_i32 s30, s20
	s_add_co_i32 s28, s28, s0
	s_wait_alu 0xfffe
	s_mul_hi_u32 s0, s30, s28
	s_xor_b32 s28, s20, s1
	s_mul_i32 s31, s0, s23
	s_wait_alu 0xfffe
	s_ashr_i32 s28, s28, 31
	s_sub_co_i32 s30, s30, s31
	s_add_co_i32 s31, s0, 1
	s_sub_co_i32 s33, s30, s23
	s_cmp_ge_u32 s30, s23
	s_cselect_b32 s0, s31, s0
	s_cselect_b32 s30, s33, s30
	s_add_co_i32 s31, s0, 1
	s_cmp_ge_u32 s30, s23
	s_cselect_b32 s0, s31, s0
	s_wait_alu 0xfffe
	s_xor_b32 s0, s0, s28
	s_delay_alu instid0(SALU_CYCLE_1) | instskip(NEXT) | instid1(SALU_CYCLE_1)
	s_sub_co_i32 s0, s0, s28
	s_mul_i32 s1, s0, s1
	s_delay_alu instid0(SALU_CYCLE_1) | instskip(NEXT) | instid1(SALU_CYCLE_1)
	s_sub_co_i32 s1, s20, s1
	s_add_co_i32 s1, s1, s21
	s_delay_alu instid0(SALU_CYCLE_1)
	s_sub_co_i32 s23, s1, s29
.LBB4_10:
	s_wait_alu 0xfffe
	s_mov_b32 s28, s23
	s_mov_b32 s23, s0
.LBB4_11:
	s_wait_kmcnt 0x0
	s_mul_i32 s0, s3, s2
	s_ashr_i32 s1, s3, 31
	s_mul_i32 s20, s0, s5
	s_add_co_i32 s11, s11, -1
	s_lshr_b32 s21, s20, 31
	s_lshr_b32 s1, s1, 25
	s_add_co_i32 s20, s20, s21
	s_add_co_i32 s1, s3, s1
	s_mul_i32 s21, s11, s3
	s_ashr_i32 s20, s20, 1
	s_ashr_i32 s29, s1, 7
	s_sub_co_i32 s1, s6, s21
	s_cmp_lt_i32 s2, s11
	s_wait_alu 0xfffe
	s_mul_i32 s2, s29, s2
	s_cselect_b32 s11, s3, s1
	s_ashr_i32 s1, s0, 31
	s_ashr_i32 s21, s20, 31
	s_lshl_b64 s[0:1], s[0:1], 1
	s_ashr_i32 s3, s2, 31
	s_add_nc_u64 s[0:1], s[12:13], s[0:1]
	s_add_nc_u64 s[12:13], s[14:15], s[20:21]
	s_lshl_b64 s[2:3], s[2:3], 1
	s_mov_b32 s14, s7
	s_mov_b32 s15, s24
	v_lshrrev_b32_e32 v25, 1, v0
	s_add_nc_u64 s[20:21], s[18:19], s[2:3]
	s_mul_u64 s[2:3], s[24:25], s[14:15]
	s_ashr_i32 s2, s8, 31
	s_add_co_i32 s6, s11, 0x7f
	s_lshr_b32 s2, s2, 26
	s_ashr_i32 s14, s6, 31
	v_dual_mov_b32 v232, 8 :: v_dual_and_b32 v5, 0x7c, v25
	v_and_b32_e32 v26, 7, v0
	v_and_b32_e32 v27, 4, v25
	v_lshlrev_b32_e32 v6, 1, v0
	s_add_co_i32 s2, s8, s2
	s_lshr_b32 s8, s14, 25
	v_lshl_or_b32 v1, s28, 7, v5
	s_add_co_i32 s6, s6, s8
	v_xor_b32_e32 v3, v27, v26
	v_lshlrev_b32_e32 v5, 6, v5
	v_and_b32_e32 v231, 2, v6
	s_ashr_i32 s14, s2, 6
	s_ashr_i32 s2, s6, 7
	s_add_co_i32 s6, s5, -1
	v_bfe_u32 v7, v0, 1, 2
	s_mul_i32 s15, s10, s6
	s_lshl_b32 s6, s23, 7
	v_lshl_or_b32 v28, v3, 3, v5
	v_add_nc_u32_e32 v5, s6, v25
	v_lshlrev_b32_e32 v9, 4, v231
	v_and_b32_e32 v49, 15, v0
	v_and_b32_e32 v6, 32, v6
	;; [unrolled: 1-line block ×3, first 2 shown]
	v_lshl_or_b32 v29, v231, 2, v7
	v_bfe_u32 v30, v0, 3, 4
	v_lshrrev_b32_e32 v7, 3, v0
	v_lshl_or_b32 v13, v5, 6, v9
	v_lshrrev_b32_e32 v5, 2, v6
	v_or_b32_e32 v9, v10, v49
	v_xor_b32_e32 v31, v29, v30
	v_lshlrev_b32_e32 v7, 8, v7
	v_mul_lo_u32 v4, v1, s7
	v_and_or_b32 v32, v0, 3, v5
	v_bfe_u32 v33, v9, 2, 4
	v_lshrrev_b32_e32 v5, 2, v9
	v_lshl_or_b32 v34, v31, 4, v7
	v_or_b32_e32 v7, s6, v9
	v_lshlrev_b32_e32 v2, 3, v26
	v_lshrrev_b32_e32 v35, 3, v6
	v_xor_b32_e32 v36, v33, v32
	v_lshlrev_b32_e32 v5, 8, v5
	s_ashr_i32 s18, s22, 31
	v_mul_lo_u32 v233, v7, s10
	s_lshr_b32 s10, s18, 29
	v_add_nc_u32_e32 v8, v4, v2
	v_xor_b32_e32 v37, v35, v26
	v_lshl_or_b32 v38, v36, 4, v5
	s_wait_alu 0xfffe
	s_add_co_i32 s22, s22, s10
	s_lshl_b32 s8, s5, 6
	s_add_co_i32 s10, s2, s15
	s_wait_alu 0xfffe
	s_ashr_i32 s19, s22, 3
	scratch_store_b32 off, v10, off offset:4 ; 4-byte Folded Spill
	; sched_barrier mask(0x00000000)
	v_or_b32_e32 v39, 1, v231
	v_add_nc_u32_e32 v5, s7, v8
	v_lshlrev_b32_e32 v40, 1, v8
	s_add_co_i32 s11, s11, s3
	v_ashrrev_i32_e32 v21, 1, v13
	v_sub_nc_u32_e32 v6, v39, v231
	v_add_nc_u32_e32 v14, s7, v5
	v_lshlrev_b32_e32 v9, 1, v5
	s_mov_b32 s3, 0x31004000
	s_and_b32 s1, s1, 0xffff
	v_lshlrev_b32_e32 v42, 4, v6
	v_add_nc_u32_e32 v41, s7, v14
	v_lshlrev_b32_e32 v14, 1, v14
	s_wait_alu 0xfffe
	s_lshl_b32 s2, s11, 1
	s_mul_i32 s11, s5, s14
	v_add_nc_u32_e32 v43, v13, v42
	v_lshlrev_b32_e32 v17, 1, v41
	s_clause 0x1
	buffer_load_b128 v[5:8], v40, s[0:3], null offen
	buffer_load_b128 v[9:12], v9, s[0:3], null offen
	s_lshl_b32 s14, s11, 5
	s_and_b32 s13, s13, 0xffff
	v_ashrrev_i32_e32 v23, 1, v43
	s_mov_b32 s15, s3
	s_clause 0x1
	buffer_load_b128 v[13:16], v14, s[0:3], null offen
	buffer_load_b128 v[17:20], v17, s[0:3], null offen
	s_clause 0x1
	buffer_load_b64 v[21:22], v21, s[12:15], null offen
	buffer_load_b64 v[23:24], v23, s[12:15], null offen
	s_lshl_b32 s29, s10, 1
	v_sub_nc_u32_e32 v39, v231, v39
	s_mul_i32 s10, s7, -3
	v_lshlrev_b32_e32 v44, 1, v233
	s_wait_alu 0xfffe
	v_add3_u32 v41, s10, 64, v41
	s_and_b32 s21, s21, 0xffff
	v_lshl_add_u32 v39, v39, 4, s8
	s_mov_b32 s22, s29
	s_mov_b32 s23, s3
	v_add_nc_u32_e32 v45, s7, v41
	buffer_load_u16 v44, v44, s[20:23], null offen
	v_add_nc_u32_e32 v43, v43, v39
	v_lshlrev_b32_e32 v41, 1, v41
	v_or_b32_e32 v29, 4, v29
	v_add_nc_u32_e32 v46, s7, v45
	v_lshlrev_b32_e32 v45, 1, v45
	v_add_nc_u32_e32 v42, v43, v42
	v_ashrrev_i32_e32 v43, 1, v43
	v_or_b32_e32 v32, 4, v32
	v_lshlrev_b32_e32 v47, 1, v46
	v_add_lshl_u32 v46, v46, s7, 1
	v_ashrrev_i32_e32 v48, 1, v42
	s_clause 0x3
	buffer_load_b128 v[77:80], v41, s[0:3], null offen
	buffer_load_b128 v[73:76], v45, s[0:3], null offen
	;; [unrolled: 1-line block ×4, first 2 shown]
	s_clause 0x1
	buffer_load_b64 v[227:228], v43, s[12:15], null offen
	buffer_load_b64 v[225:226], v48, s[12:15], null offen
	v_or_b32_e32 v43, 1, v27
	v_or_b32_e32 v45, 2, v27
	;; [unrolled: 1-line block ×3, first 2 shown]
	v_lshlrev_b32_e32 v46, 7, v49
	v_or_b32_e32 v47, 1, v35
	v_or_b32_e32 v48, 2, v35
	v_or_b32_e32 v35, 3, v35
	v_xor_b32_e32 v43, v43, v26
	v_xor_b32_e32 v45, v45, v26
	v_lshlrev_b32_e32 v41, 1, v28
	v_xor_b32_e32 v27, v27, v26
	v_xor_b32_e32 v29, v29, v30
	v_lshl_or_b32 v236, v37, 4, v46
	v_xor_b32_e32 v30, v47, v26
	v_xor_b32_e32 v46, v48, v26
	;; [unrolled: 1-line block ×4, first 2 shown]
	v_sub_nc_u32_e32 v33, v43, v3
	v_sub_nc_u32_e32 v35, v45, v43
	;; [unrolled: 1-line block ×5, first 2 shown]
	v_lshlrev_b32_e32 v237, 3, v33
	v_lshl_add_u32 v33, v33, 4, v41
	v_lshlrev_b32_e32 v238, 3, v35
	v_lshlrev_b32_e32 v35, 4, v35
	v_sub_nc_u32_e32 v30, v30, v37
	v_sub_nc_u32_e32 v32, v32, v36
	;; [unrolled: 1-line block ×3, first 2 shown]
	v_lshlrev_b32_e32 v37, 4, v43
	v_lshl_add_u32 v240, v31, 4, v236
	v_add3_u32 v31, 0x80, v33, v35
	v_lshrrev_b32_e32 v50, 1, v34
	v_lshl_add_u32 v29, v29, 4, v34
	v_lshl_add_u32 v239, v30, 4, v236
	;; [unrolled: 1-line block ×4, first 2 shown]
	v_add3_u32 v26, 0x80, v31, v37
	scratch_store_b32 off, v49, off offset:8 ; 4-byte Folded Spill
	v_and_b32_e32 v49, 0x7ff8, v50
	v_lshrrev_b32_e32 v235, 1, v38
	v_ashrrev_i32_e32 v242, 1, v29
	v_ashrrev_i32_e32 v243, 1, v30
	s_mov_b32 s10, 0xf000f
	s_mov_b32 s11, 0xf000f0
	s_movk_i32 s18, 0x2c00
	v_sub_nc_u32_e32 v27, v3, v27
	v_lshlrev_b32_e32 v36, 3, v43
	v_add3_u32 v34, v238, v237, 64
	v_add_nc_u32_e32 v245, v42, v39
	s_wait_loadcnt 0xc
	ds_store_b128 v41, v[5:8]
	s_wait_loadcnt 0xb
	ds_store_b128 v33, v[9:12] offset:128
	s_wait_loadcnt 0xa
	ds_store_b128 v31, v[13:16] offset:128
	;; [unrolled: 2-line block ×3, first 2 shown]
	s_wait_loadcnt 0x8
	ds_store_b64 v49, v[21:22] offset:16384
	s_wait_loadcnt 0x7
	ds_store_b64 v242, v[23:24] offset:16384
	s_wait_dscnt 0x0
	s_barrier_signal -1
	s_barrier_wait -1
	ds_load_b128 v[221:224], v236
	ds_load_b128 v[213:216], v236 offset:2048
	ds_load_b128 v[217:220], v239
	ds_load_b128 v[205:208], v239 offset:2048
	ds_load_b128 v[209:212], v236 offset:4096
	;; [unrolled: 1-line block ×11, first 2 shown]
	ds_load_b64 v[5:6], v235 offset:16384
	ds_load_b128 v[113:116], v239 offset:12288
	ds_load_b128 v[109:112], v239 offset:14336
	ds_load_b128 v[181:184], v240
	ds_load_b128 v[81:84], v241 offset:14336
	ds_load_b64 v[7:8], v243 offset:16384
	ds_load_b128 v[173:176], v240 offset:2048
	ds_load_b128 v[169:172], v240 offset:4096
	ds_load_b128 v[165:168], v241 offset:2048
	ds_load_b128 v[157:160], v241 offset:4096
	ds_load_b128 v[149:152], v240 offset:6144
	ds_load_b128 v[121:124], v240 offset:8192
	ds_load_b128 v[85:88], v241 offset:6144
	ds_load_b128 v[97:100], v241 offset:8192
	ds_load_b128 v[117:120], v240 offset:10240
	ds_load_b128 v[105:108], v240 offset:12288
	ds_load_b128 v[93:96], v241 offset:10240
	ds_load_b128 v[89:92], v241 offset:12288
	ds_load_b128 v[177:180], v241
	ds_load_b128 v[101:104], v240 offset:14336
	s_wait_dscnt 0x13
	s_wait_alu 0xfffe
	v_and_or_b32 v9, v5, s10, 0x64006400
	v_and_or_b32 v10, v5, s11, 0x64006400
	v_ashrrev_i32_e32 v5, 8, v5
	v_and_or_b32 v11, v6, s10, 0x64006400
	v_and_or_b32 v12, v6, s11, 0x64006400
	v_ashrrev_i32_e32 v6, 8, v6
	s_wait_dscnt 0xe
	v_and_or_b32 v13, v7, s10, 0x64006400
	v_and_or_b32 v14, v7, s11, 0x64006400
	v_ashrrev_i32_e32 v7, 8, v7
	v_and_or_b32 v15, v8, s10, 0x64006400
	v_and_or_b32 v16, v8, s11, 0x64006400
	v_ashrrev_i32_e32 v8, 8, v8
	v_pk_add_f16 v9, 0xe408, v9 op_sel_hi:[0,1]
	v_pk_fma_f16 v10, v10, s18, 0xd480 op_sel_hi:[1,0,0]
	v_and_or_b32 v17, v5, s10, 0x64006400
	v_and_or_b32 v5, v5, s11, 0x64006400
	v_pk_add_f16 v11, 0xe408, v11 op_sel_hi:[0,1]
	v_pk_fma_f16 v12, v12, s18, 0xd480 op_sel_hi:[1,0,0]
	v_and_or_b32 v18, v6, s10, 0x64006400
	v_and_or_b32 v6, v6, s11, 0x64006400
	;; [unrolled: 1-line block ×6, first 2 shown]
	v_lshlrev_b32_e32 v27, 3, v27
	v_add3_u32 v28, v34, v28, v36
	v_pk_add_f16 v13, 0xe408, v13 op_sel_hi:[0,1]
	v_pk_fma_f16 v14, v14, s18, 0xd480 op_sel_hi:[1,0,0]
	v_pk_add_f16 v15, 0xe408, v15 op_sel_hi:[0,1]
	v_pk_fma_f16 v16, v16, s18, 0xd480 op_sel_hi:[1,0,0]
	s_wait_loadcnt 0x6
	v_pk_mul_f16 v197, v44, v9 op_sel_hi:[0,1]
	v_pk_mul_f16 v198, v44, v10 op_sel_hi:[0,1]
	v_pk_add_f16 v9, 0xe408, v17 op_sel_hi:[0,1]
	v_pk_fma_f16 v5, v5, s18, 0xd480 op_sel_hi:[1,0,0]
	v_pk_mul_f16 v193, v44, v11 op_sel_hi:[0,1]
	v_pk_mul_f16 v194, v44, v12 op_sel_hi:[0,1]
	v_pk_add_f16 v10, 0xe408, v18 op_sel_hi:[0,1]
	v_pk_fma_f16 v6, v6, s18, 0xd480 op_sel_hi:[1,0,0]
	v_pk_add_f16 v11, 0xe408, v19 op_sel_hi:[0,1]
	v_pk_fma_f16 v7, v7, s18, 0xd480 op_sel_hi:[1,0,0]
	;; [unrolled: 2-line block ×3, first 2 shown]
	v_add3_u32 v244, v28, v27, 0xffffffc0
	v_pk_mul_f16 v189, v44, v13 op_sel_hi:[0,1]
	v_pk_mul_f16 v190, v44, v14 op_sel_hi:[0,1]
	;; [unrolled: 1-line block ×12, first 2 shown]
	; sched_barrier mask(0x00000000)
	v_or_b32_e32 v5, 3, v25
	v_or_b32_e32 v6, 3, v1
	;; [unrolled: 1-line block ×3, first 2 shown]
	v_dual_mov_b32 v1, 0 :: v_dual_mov_b32 v250, 2
	s_delay_alu instid0(VALU_DEP_4) | instskip(NEXT) | instid1(VALU_DEP_4)
	v_xor_b32_e32 v5, v5, v0
	v_mad_co_u64_u32 v[6:7], null, s7, v6, v[2:3]
	v_add3_u32 v4, v4, s7, v2
	v_mad_co_u64_u32 v[7:8], null, s7, v8, v[2:3]
	s_delay_alu instid0(VALU_DEP_4)
	v_dual_mov_b32 v2, v1 :: v_dual_and_b32 v5, 7, v5
	v_or_b32_e32 v246, 9, v231
	scratch_store_b32 off, v0, off          ; 4-byte Folded Spill
	v_dual_mov_b32 v0, v50 :: v_dual_add_nc_u32 v247, 0x100, v40
	v_sub_nc_u32_e32 v9, v5, v45
	v_sub_nc_u32_e32 v5, v3, v5
	v_lshl_add_u32 v249, v4, 1, 0x100
	v_mov_b32_e32 v3, v1
	v_lshl_add_u32 v251, v6, 1, 0x100
	v_lshlrev_b32_e32 v248, 3, v9
	v_dual_mov_b32 v5, v1 :: v_dual_lshlrev_b32 v8, 3, v5
	v_mov_b32_e32 v4, v1
	v_lshl_add_u32 v252, v7, 1, 0x100
	s_delay_alu instid0(VALU_DEP_4) | instskip(SKIP_2) | instid1(VALU_DEP_3)
	v_dual_mov_b32 v6, v1 :: v_dual_add_nc_u32 v9, v34, v248
	v_dual_mov_b32 v7, v1 :: v_dual_mov_b32 v10, v1
	v_mov_b32_e32 v11, v1
	v_add3_u32 v253, v9, v8, 0xffffffc0
	v_dual_mov_b32 v8, v1 :: v_dual_mov_b32 v9, v1
	v_dual_mov_b32 v12, v1 :: v_dual_mov_b32 v13, v1
	;; [unrolled: 1-line block ×27, first 2 shown]
	v_mov_b32_e32 v64, v1
	s_max_i32 s19, s19, 2
	s_mov_b32 s7, s24
	s_wait_alu 0xfffe
	s_add_co_i32 s19, s19, -1
.LBB4_12:                               ; =>This Inner Loop Header: Depth=1
	v_lshlrev_b32_e32 v254, 1, v244
	s_wait_dscnt 0x0
	s_barrier_signal -1
	s_barrier_wait -1
	v_add_nc_u32_e64 v230, 2, s7
	s_wait_loadcnt 0x5
	ds_store_b128 v254, v[77:80]
	v_lshl_add_u32 v254, v237, 1, v254
	v_sub_nc_u32_e32 v229, v246, v232
	v_lshrrev_b32_e32 v234, 31, v245
	v_wmma_f32_16x16x16_f16 v[57:64], v[221:224], v[197:200], v[57:64]
	buffer_load_b128 v[77:80], v247, s[0:3], null offen
	s_wait_loadcnt 0x5
	ds_store_b128 v254, v[73:76] offset:128
	v_lshlrev_b32_e32 v74, 1, v233
	v_sub_nc_u32_e32 v75, v230, v250
	v_sub_nc_u32_e32 v76, v229, v231
	v_add_nc_u32_e32 v221, v245, v234
	v_wmma_f32_16x16x16_f16 v[57:64], v[217:220], v[193:196], v[57:64]
	buffer_load_u16 v234, v74, s[20:23], null offen
	v_mul_lo_u32 v74, v75, s8
	v_lshlrev_b32_e32 v255, 1, v238
	v_lshlrev_b32_e32 v75, 4, v76
	;; [unrolled: 1-line block ×3, first 2 shown]
	v_ashrrev_i32_e32 v217, 1, v221
	v_add_nc_u32_e64 v250, 3, s7
	v_add3_u32 v76, 0x80, v254, v255
	s_and_not1_b32 s29, 1, s7
	v_add3_u32 v218, v74, v245, v75
	v_add_nc_u32_e32 v244, v244, v253
	s_wait_alu 0xfffe
	v_add_nc_u32_e32 v233, s29, v233
	s_wait_loadcnt 0x5
	ds_store_b128 v76, v[65:68] offset:128
	v_add3_u32 v65, 0x80, v76, v73
	v_lshrrev_b32_e32 v66, 31, v218
	v_wmma_f32_16x16x16_f16 v[49:56], v[213:216], v[197:200], v[49:56]
	buffer_load_b128 v[73:76], v249, s[0:3], null offen
	; sched_group_barrier mask(0x00000200) size(1) SyncID(0)
	; sched_group_barrier mask(0x00000008) size(1) SyncID(0)
	; sched_group_barrier mask(0x00000020) size(1) SyncID(0)
	; sched_group_barrier mask(0x00000008) size(-1) SyncID(0)
	; sched_group_barrier mask(0x00000200) size(1) SyncID(0)
	; sched_group_barrier mask(0x00000008) size(1) SyncID(0)
	; sched_group_barrier mask(0x00000020) size(1) SyncID(0)
	; sched_group_barrier mask(0x00000008) size(-1) SyncID(0)
	;; [unrolled: 4-line block ×3, first 2 shown]
	s_wait_loadcnt 0x5
	ds_store_b128 v65, v[69:72] offset:128
	v_add_nc_u32_e32 v69, v218, v66
	v_wmma_f32_16x16x16_f16 v[49:56], v[205:208], v[193:196], v[49:56]
	buffer_load_b128 v[65:68], v252, s[0:3], null offen
	s_wait_loadcnt 0x5
	ds_store_b64 v0, v[227:228] offset:16384
	v_wmma_f32_16x16x16_f16 v[41:48], v[209:212], v[197:200], v[41:48]
	v_ashrrev_i32_e32 v205, 1, v69
	buffer_load_b128 v[69:72], v251, s[0:3], null offen
	s_wait_loadcnt 0x5
	ds_store_b64 v242, v[225:226] offset:16384
	; sched_group_barrier mask(0x00000200) size(1) SyncID(0)
	; sched_group_barrier mask(0x00000008) size(1) SyncID(0)
	; sched_group_barrier mask(0x00000020) size(1) SyncID(0)
	; sched_group_barrier mask(0x00000008) size(-1) SyncID(0)
	; sched_group_barrier mask(0x00000200) size(1) SyncID(0)
	; sched_group_barrier mask(0x00000008) size(1) SyncID(0)
	;; [unrolled: 1-line block ×3, first 2 shown]
	; sched_group_barrier mask(0x00000008) size(-1) SyncID(0)
	; sched_group_barrier mask(0x00000200) size(1) SyncID(0)
	v_wmma_f32_16x16x16_f16 v[41:48], v[201:204], v[193:196], v[41:48]
	s_clause 0x1
	buffer_load_b64 v[227:228], v217, s[12:15], null offen
	buffer_load_b64 v[225:226], v205, s[12:15], null offen
	v_sub_nc_u32_e32 v202, v250, v230
	v_sub_nc_u32_e32 v201, v231, v229
	s_wait_dscnt 0x0
	s_barrier_signal -1
	s_barrier_wait -1
	v_mul_lo_u32 v202, v202, s8
	v_lshlrev_b32_e32 v201, 4, v201
	ds_load_b128 v[221:224], v236
	v_wmma_f32_16x16x16_f16 v[33:40], v[161:164], v[197:200], v[33:40]
	; sched_group_barrier mask(0x00000008) size(1) SyncID(0)
	; sched_group_barrier mask(0x00000020) size(1) SyncID(0)
	; sched_group_barrier mask(0x00000008) size(-1) SyncID(0)
	; sched_group_barrier mask(0x00000100) size(1) SyncID(0)
	; sched_group_barrier mask(0x00000008) size(1) SyncID(0)
	v_add3_u32 v245, v201, v202, v218
	ds_load_b128 v[217:220], v239
	v_wmma_f32_16x16x16_f16 v[33:40], v[133:136], v[193:196], v[33:40]
	ds_load_b128 v[213:216], v236 offset:2048
	v_wmma_f32_16x16x16_f16 v[25:32], v[153:156], v[197:200], v[25:32]
	ds_load_b128 v[205:208], v239 offset:2048
	; sched_group_barrier mask(0x00000100) size(1) SyncID(0)
	; sched_group_barrier mask(0x00000008) size(1) SyncID(0)
	;; [unrolled: 1-line block ×5, first 2 shown]
	v_wmma_f32_16x16x16_f16 v[25:32], v[141:144], v[193:196], v[25:32]
	ds_load_b128 v[209:212], v236 offset:4096
	v_wmma_f32_16x16x16_f16 v[17:24], v[145:148], v[197:200], v[17:24]
	ds_load_b128 v[201:204], v239 offset:4096
	; sched_group_barrier mask(0x00000008) size(1) SyncID(0)
	; sched_group_barrier mask(0x00000100) size(1) SyncID(0)
	; sched_group_barrier mask(0x00000008) size(1) SyncID(0)
	; sched_group_barrier mask(0x00000100) size(1) SyncID(0)
	v_wmma_f32_16x16x16_f16 v[17:24], v[137:140], v[193:196], v[17:24]
	ds_load_b128 v[161:164], v236 offset:6144
	v_wmma_f32_16x16x16_f16 v[9:16], v[129:132], v[197:200], v[9:16]
	ds_load_b128 v[133:136], v239 offset:6144
	; sched_group_barrier mask(0x00000008) size(1) SyncID(0)
	; sched_group_barrier mask(0x00000100) size(1) SyncID(0)
	; sched_group_barrier mask(0x00000008) size(1) SyncID(0)
	; sched_group_barrier mask(0x00000100) size(1) SyncID(0)
	v_wmma_f32_16x16x16_f16 v[9:16], v[113:116], v[193:196], v[9:16]
	ds_load_b128 v[153:156], v236 offset:8192
	v_wmma_f32_16x16x16_f16 v[1:8], v[125:128], v[197:200], v[1:8]
	ds_load_b128 v[141:144], v239 offset:8192
	; sched_group_barrier mask(0x00000008) size(1) SyncID(0)
	; sched_group_barrier mask(0x00000100) size(1) SyncID(0)
	; sched_group_barrier mask(0x00000008) size(1) SyncID(0)
	; sched_group_barrier mask(0x00000100) size(1) SyncID(0)
	v_wmma_f32_16x16x16_f16 v[1:8], v[109:112], v[193:196], v[1:8]
	ds_load_b128 v[145:148], v236 offset:10240
	v_wmma_f32_16x16x16_f16 v[57:64], v[181:184], v[189:192], v[57:64]
	ds_load_b128 v[137:140], v239 offset:10240
	; sched_group_barrier mask(0x00000008) size(1) SyncID(0)
	; sched_group_barrier mask(0x00000100) size(1) SyncID(0)
	; sched_group_barrier mask(0x00000008) size(1) SyncID(0)
	; sched_group_barrier mask(0x00000100) size(1) SyncID(0)
	v_wmma_f32_16x16x16_f16 v[57:64], v[177:180], v[185:188], v[57:64]
	ds_load_b128 v[129:132], v236 offset:12288
	v_wmma_f32_16x16x16_f16 v[49:56], v[173:176], v[189:192], v[49:56]
	ds_load_b128 v[113:116], v239 offset:12288
	; sched_group_barrier mask(0x00000008) size(1) SyncID(0)
	; sched_group_barrier mask(0x00000100) size(1) SyncID(0)
	; sched_group_barrier mask(0x00000008) size(1) SyncID(0)
	; sched_group_barrier mask(0x00000100) size(1) SyncID(0)
	v_wmma_f32_16x16x16_f16 v[49:56], v[165:168], v[185:188], v[49:56]
	ds_load_b128 v[125:128], v236 offset:14336
	v_wmma_f32_16x16x16_f16 v[41:48], v[169:172], v[189:192], v[41:48]
	ds_load_b128 v[109:112], v239 offset:14336
	; sched_group_barrier mask(0x00000008) size(1) SyncID(0)
	; sched_group_barrier mask(0x00000100) size(1) SyncID(0)
	; sched_group_barrier mask(0x00000008) size(1) SyncID(0)
	; sched_group_barrier mask(0x00000100) size(1) SyncID(0)
	v_wmma_f32_16x16x16_f16 v[41:48], v[157:160], v[185:188], v[41:48]
	ds_load_b64 v[193:194], v235 offset:16384
	v_wmma_f32_16x16x16_f16 v[33:40], v[149:152], v[189:192], v[33:40]
	ds_load_b128 v[181:184], v240
	; sched_group_barrier mask(0x00000008) size(1) SyncID(0)
	; sched_group_barrier mask(0x00000100) size(1) SyncID(0)
	;; [unrolled: 1-line block ×4, first 2 shown]
	v_wmma_f32_16x16x16_f16 v[33:40], v[85:88], v[185:188], v[33:40]
	ds_load_b128 v[177:180], v241
	v_wmma_f32_16x16x16_f16 v[25:32], v[121:124], v[189:192], v[25:32]
	ds_load_b128 v[173:176], v240 offset:2048
	; sched_group_barrier mask(0x00000008) size(1) SyncID(0)
	; sched_group_barrier mask(0x00000100) size(1) SyncID(0)
	;; [unrolled: 1-line block ×4, first 2 shown]
	v_wmma_f32_16x16x16_f16 v[25:32], v[97:100], v[185:188], v[25:32]
	ds_load_b128 v[165:168], v241 offset:2048
	v_wmma_f32_16x16x16_f16 v[17:24], v[117:120], v[189:192], v[17:24]
	ds_load_b128 v[169:172], v240 offset:4096
	; sched_group_barrier mask(0x00000008) size(1) SyncID(0)
	; sched_group_barrier mask(0x00000100) size(1) SyncID(0)
	;; [unrolled: 1-line block ×4, first 2 shown]
	v_wmma_f32_16x16x16_f16 v[17:24], v[93:96], v[185:188], v[17:24]
	ds_load_b128 v[157:160], v241 offset:4096
	v_wmma_f32_16x16x16_f16 v[9:16], v[105:108], v[189:192], v[9:16]
	ds_load_b128 v[149:152], v240 offset:6144
	s_wait_dscnt 0x7
	v_ashrrev_i32_e32 v195, 8, v194
	; sched_group_barrier mask(0x00000008) size(1) SyncID(0)
	; sched_group_barrier mask(0x00000100) size(1) SyncID(0)
	; sched_group_barrier mask(0x00000008) size(1) SyncID(0)
	; sched_group_barrier mask(0x00000100) size(1) SyncID(0)
	v_wmma_f32_16x16x16_f16 v[9:16], v[89:92], v[185:188], v[9:16]
	ds_load_b128 v[85:88], v241 offset:6144
	v_wmma_f32_16x16x16_f16 v[1:8], v[101:104], v[189:192], v[1:8]
	ds_load_b128 v[121:124], v240 offset:8192
	v_and_or_b32 v189, v193, s10, 0x64006400
	v_ashrrev_i32_e32 v191, 8, v193
	v_and_or_b32 v192, v194, s10, 0x64006400
	v_wmma_f32_16x16x16_f16 v[1:8], v[81:84], v[185:188], v[1:8]
	ds_load_b128 v[97:100], v241 offset:8192
	ds_load_b128 v[117:120], v240 offset:10240
	;; [unrolled: 1-line block ×7, first 2 shown]
	ds_load_b64 v[185:186], v243 offset:16384
	v_pk_add_f16 v187, 0xe408, v189 op_sel_hi:[0,1]
	v_and_or_b32 v188, v191, s10, 0x64006400
	v_and_or_b32 v190, v193, s11, 0x64006400
	v_and_or_b32 v193, v194, s11, 0x64006400
	v_and_or_b32 v189, v191, s11, 0x64006400
	v_pk_add_f16 v191, 0xe408, v192 op_sel_hi:[0,1]
	v_pk_add_f16 v188, 0xe408, v188 op_sel_hi:[0,1]
	v_pk_fma_f16 v190, v190, s18, 0xd480 op_sel_hi:[1,0,0]
	v_pk_fma_f16 v192, v193, s18, 0xd480 op_sel_hi:[1,0,0]
	;; [unrolled: 1-line block ×3, first 2 shown]
	; sched_group_barrier mask(0x00000008) size(1) SyncID(0)
	; sched_group_barrier mask(0x00000100) size(1) SyncID(0)
	;; [unrolled: 1-line block ×21, first 2 shown]
	s_wait_dscnt 0x0
	v_and_or_b32 v230, v186, s10, 0x64006400
	v_and_or_b32 v254, v186, s11, 0x64006400
	v_ashrrev_i32_e32 v255, 8, v186
	v_and_or_b32 v186, v195, s10, 0x64006400
	v_and_or_b32 v196, v185, s10, 0x64006400
	;; [unrolled: 1-line block ×3, first 2 shown]
	v_ashrrev_i32_e32 v185, 8, v185
	s_delay_alu instid0(VALU_DEP_4) | instskip(SKIP_3) | instid1(VALU_DEP_3)
	v_pk_add_f16 v186, 0xe408, v186 op_sel_hi:[0,1]
	s_wait_loadcnt 0x5
	v_pk_mul_f16 v197, v234, v187 op_sel_hi:[0,1]
	v_and_or_b32 v187, v195, s11, 0x64006400
	v_pk_mul_f16 v195, v234, v186 op_sel_hi:[0,1]
	v_and_or_b32 v186, v185, s10, 0x64006400
	v_and_or_b32 v185, v185, s11, 0x64006400
	v_pk_mul_f16 v199, v234, v188 op_sel_hi:[0,1]
	v_pk_fma_f16 v187, v187, s18, 0xd480 op_sel_hi:[1,0,0]
	v_pk_mul_f16 v193, v234, v191 op_sel_hi:[0,1]
	v_pk_add_f16 v186, 0xe408, v186 op_sel_hi:[0,1]
	v_pk_add_f16 v188, 0xe408, v196 op_sel_hi:[0,1]
	v_pk_fma_f16 v185, v185, s18, 0xd480 op_sel_hi:[1,0,0]
	v_pk_mul_f16 v196, v234, v187 op_sel_hi:[0,1]
	v_pk_fma_f16 v187, v254, s18, 0xd480 op_sel_hi:[1,0,0]
	v_pk_mul_f16 v191, v234, v186 op_sel_hi:[0,1]
	v_pk_add_f16 v186, 0xe408, v230 op_sel_hi:[0,1]
	v_pk_mul_f16 v200, v234, v189 op_sel_hi:[0,1]
	v_pk_mul_f16 v194, v234, v192 op_sel_hi:[0,1]
	v_pk_mul_f16 v189, v234, v188 op_sel_hi:[0,1]
	v_pk_mul_f16 v192, v234, v185 op_sel_hi:[0,1]
	v_pk_mul_f16 v185, v234, v186 op_sel_hi:[0,1]
	v_pk_mul_f16 v186, v234, v187 op_sel_hi:[0,1]
	v_and_or_b32 v187, v255, s10, 0x64006400
	v_and_or_b32 v188, v255, s11, 0x64006400
	v_pk_mul_f16 v198, v234, v190 op_sel_hi:[0,1]
	v_pk_fma_f16 v190, v229, s18, 0xd480 op_sel_hi:[1,0,0]
	s_delay_alu instid0(VALU_DEP_4) | instskip(NEXT) | instid1(VALU_DEP_4)
	v_pk_add_f16 v187, 0xe408, v187 op_sel_hi:[0,1]
	v_pk_fma_f16 v188, v188, s18, 0xd480 op_sel_hi:[1,0,0]
	s_delay_alu instid0(VALU_DEP_3) | instskip(NEXT) | instid1(VALU_DEP_3)
	v_pk_mul_f16 v190, v234, v190 op_sel_hi:[0,1]
	v_pk_mul_f16 v187, v234, v187 op_sel_hi:[0,1]
	s_delay_alu instid0(VALU_DEP_3)
	v_pk_mul_f16 v188, v234, v188 op_sel_hi:[0,1]
	; sched_barrier mask(0x00000000)
	v_add_nc_u32_e32 v232, 4, v232
	v_add_nc_u32_e32 v246, 4, v246
	;; [unrolled: 1-line block ×6, first 2 shown]
	s_add_co_i32 s7, s7, 1
	s_wait_alu 0xfffe
	s_cmp_lg_u32 s19, s7
	s_cbranch_scc1 .LBB4_12
; %bb.13:
	v_wmma_f32_16x16x16_f16 v[57:64], v[221:224], v[197:200], v[57:64]
	v_wmma_f32_16x16x16_f16 v[49:56], v[213:216], v[197:200], v[49:56]
	;; [unrolled: 1-line block ×24, first 2 shown]
	s_lshl_b64 s[0:1], s[26:27], 1
	s_mov_b32 s3, 0
	s_mov_b32 s2, s9
	v_wmma_f32_16x16x16_f16 v[57:64], v[177:180], v[185:188], v[57:64]
	v_wmma_f32_16x16x16_f16 v[49:56], v[165:168], v[185:188], v[49:56]
	;; [unrolled: 1-line block ×8, first 2 shown]
	s_add_nc_u64 s[12:13], s[16:17], s[0:1]
	s_mul_u64 s[2:3], s[24:25], s[2:3]
	; sched_barrier mask(0x00000000)
	s_wait_loadcnt 0x3
	scratch_load_b32 v68, off, off th:TH_LOAD_LU ; 4-byte Folded Reload
	s_wait_dscnt 0x0
	scratch_load_b32 v66, off, off offset:8 th:TH_LOAD_LU ; 4-byte Folded Reload
	s_barrier_signal -1
	s_wait_loadcnt 0x4
	scratch_load_b32 v69, off, off offset:4 th:TH_LOAD_LU ; 4-byte Folded Reload
	v_cvt_f16_f32_e32 v57, v57
	v_cvt_f16_f32_e32 v58, v58
	;; [unrolled: 1-line block ×5, first 2 shown]
	s_barrier_wait -1
	v_cvt_f16_f32_e32 v62, v62
	v_cvt_f16_f32_e32 v63, v63
	;; [unrolled: 1-line block ×4, first 2 shown]
	s_and_b32 s13, s13, 0xffff
	s_mov_b32 s15, 0x31004000
	v_cvt_f16_f32_e32 v50, v50
	v_cvt_f16_f32_e32 v51, v51
	;; [unrolled: 1-line block ×55, first 2 shown]
	s_wait_loadcnt 0x2
	v_lshlrev_b32_e32 v0, 3, v68
	v_lshrrev_b32_e32 v65, 4, v68
	s_wait_loadcnt 0x1
	v_lshlrev_b32_e32 v66, 1, v66
	v_lshlrev_b32_e32 v68, 7, v68
	v_and_b32_e32 v0, 0x78, v0
	v_lshl_or_b32 v67, s28, 7, v65
	s_wait_loadcnt 0x0
	v_lshl_add_u32 v66, v69, 1, v66
	s_delay_alu instid0(VALU_DEP_3) | instskip(SKIP_1) | instid1(VALU_DEP_3)
	v_or_b32_e32 v69, s6, v0
	v_lshlrev_b32_e32 v0, 1, v0
	v_and_or_b32 v66, 0x800, v68, v66
	v_mul_lo_u32 v70, v67, s9
	v_cmp_gt_i32_e64 s1, s4, v67
	ds_store_b16 v66, v57
	ds_store_b16 v66, v58 offset:256
	ds_store_b16 v66, v59 offset:512
	ds_store_b16 v66, v60 offset:768
	ds_store_b16 v66, v61 offset:1024
	ds_store_b16 v66, v62 offset:1280
	ds_store_b16 v66, v63 offset:1536
	ds_store_b16 v66, v64 offset:1792
	v_lshl_or_b32 v0, v65, 8, v0
	v_or_b32_e32 v61, 4, v69
	s_wait_dscnt 0x0
	s_barrier_signal -1
	s_barrier_wait -1
	ds_load_b128 v[57:60], v0
	v_cmp_gt_i32_e64 s0, s5, v69
	v_cmp_gt_i32_e32 vcc_lo, s5, v61
	v_add_lshl_u32 v61, v70, v69, 1
	s_and_b32 s2, s1, s0
	s_and_b32 s1, s1, vcc_lo
	v_cndmask_b32_e64 v62, 0x80000000, 0, s2
	v_cndmask_b32_e64 v63, 0x80000000, 0, s1
	s_add_co_i32 s1, s5, s3
	s_lshl_b32 s2, s9, 5
	s_wait_alu 0xfffe
	s_lshl_b32 s14, s1, 1
	v_add_nc_u32_e32 v62, v62, v61
	v_add_nc_u32_e32 v63, v61, v63
	s_wait_dscnt 0x0
	s_clause 0x1
	buffer_store_b64 v[57:58], v62, s[12:15], null offen
	buffer_store_b64 v[59:60], v63, s[12:15], null offen offset:8
	v_or_b32_e32 v57, 16, v67
	s_wait_dscnt 0x0
	s_barrier_signal -1
	s_barrier_wait -1
	ds_store_b16 v66, v49
	ds_store_b16 v66, v50 offset:256
	ds_store_b16 v66, v51 offset:512
	ds_store_b16 v66, v52 offset:768
	ds_store_b16 v66, v53 offset:1024
	ds_store_b16 v66, v54 offset:1280
	ds_store_b16 v66, v55 offset:1536
	ds_store_b16 v66, v56 offset:1792
	s_wait_dscnt 0x0
	s_barrier_signal -1
	s_barrier_wait -1
	ds_load_b128 v[49:52], v0
	v_cmp_gt_i32_e64 s1, s4, v57
	v_add_nc_u32_e32 v53, s2, v61
	s_and_b32 s3, s0, s1
	s_and_b32 s1, s1, vcc_lo
	s_wait_alu 0xfffe
	v_cndmask_b32_e64 v54, 0x80000000, 0, s3
	v_cndmask_b32_e64 v55, 0x80000000, 0, s1
	s_delay_alu instid0(VALU_DEP_2) | instskip(NEXT) | instid1(VALU_DEP_2)
	v_add_nc_u32_e32 v54, v54, v53
	v_add_nc_u32_e32 v55, v53, v55
	s_wait_dscnt 0x0
	s_clause 0x1
	buffer_store_b64 v[49:50], v54, s[12:15], null offen
	buffer_store_b64 v[51:52], v55, s[12:15], null offen offset:8
	v_or_b32_e32 v49, 32, v67
	s_wait_dscnt 0x0
	s_barrier_signal -1
	s_barrier_wait -1
	ds_store_b16 v66, v41
	ds_store_b16 v66, v42 offset:256
	ds_store_b16 v66, v43 offset:512
	ds_store_b16 v66, v44 offset:768
	ds_store_b16 v66, v45 offset:1024
	ds_store_b16 v66, v46 offset:1280
	ds_store_b16 v66, v47 offset:1536
	ds_store_b16 v66, v48 offset:1792
	s_wait_dscnt 0x0
	s_barrier_signal -1
	s_barrier_wait -1
	ds_load_b128 v[41:44], v0
	v_cmp_gt_i32_e64 s1, s4, v49
	v_add_nc_u32_e32 v45, s2, v53
	s_and_b32 s3, s0, s1
	s_and_b32 s1, s1, vcc_lo
	s_wait_alu 0xfffe
	v_cndmask_b32_e64 v46, 0x80000000, 0, s3
	v_cndmask_b32_e64 v47, 0x80000000, 0, s1
	s_delay_alu instid0(VALU_DEP_2) | instskip(NEXT) | instid1(VALU_DEP_2)
	;; [unrolled: 30-line block ×6, first 2 shown]
	v_add_nc_u32_e32 v14, v14, v13
	v_add_nc_u32_e32 v15, v13, v15
	s_wait_dscnt 0x0
	s_clause 0x1
	buffer_store_b64 v[9:10], v14, s[12:15], null offen
	buffer_store_b64 v[11:12], v15, s[12:15], null offen offset:8
	v_or_b32_e32 v9, 0x70, v67
	s_wait_dscnt 0x0
	s_barrier_signal -1
	s_barrier_wait -1
	ds_store_b16 v66, v1
	ds_store_b16 v66, v2 offset:256
	ds_store_b16 v66, v3 offset:512
	;; [unrolled: 1-line block ×7, first 2 shown]
	s_wait_dscnt 0x0
	s_barrier_signal -1
	s_barrier_wait -1
	ds_load_b128 v[0:3], v0
	v_cmp_gt_i32_e64 s1, s4, v9
	v_add_nc_u32_e32 v4, s2, v13
	s_and_b32 s0, s0, s1
	s_wait_alu 0xfffe
	v_cndmask_b32_e64 v5, 0x80000000, 0, s0
	s_and_b32 s0, s1, vcc_lo
	s_wait_alu 0xfffe
	v_cndmask_b32_e64 v6, 0x80000000, 0, s0
	s_delay_alu instid0(VALU_DEP_2) | instskip(NEXT) | instid1(VALU_DEP_2)
	v_add_nc_u32_e32 v5, v5, v4
	v_add_nc_u32_e32 v4, v4, v6
	s_wait_dscnt 0x0
	s_clause 0x1
	buffer_store_b64 v[0:1], v5, s[12:15], null offen
	buffer_store_b64 v[2:3], v4, s[12:15], null offen offset:8
	s_nop 0
	s_sendmsg sendmsg(MSG_DEALLOC_VGPRS)
	s_endpgm
	.section	.rodata,"a",@progbits
	.p2align	6, 0x0
	.amdhsa_kernel _ZN2ck27kernel_gemm_xdl_cshuffle_v3INS_28GridwiseGemm_xdl_cshuffle_v3INS_13tensor_layout4gemm8RowMajorENS3_11ColumnMajorES4_DF16_NS_7pk_i4_tEfDF16_DF16_NS_16tensor_operation12element_wise11PassThroughES9_S9_LNS7_6device18GemmSpecializationE0ELi256ELi1ELi128ELi128ELi128ELi64ELi8ELi16ELi16ELi16ELi8ELi1ENS_8SequenceIJLi8ELi32ELi1EEEENSC_IJLi1ELi0ELi2EEEESE_Li2ELi8ELi8ELb0ELi0ENSC_IJLi2ELi128ELi1EEEESE_SE_Li2ELi16ELi16ELb0ELi0ELi1ELi1ENSC_IJLi1ELi16ELi1ELi16EEEELi4ELNS_26BlockGemmPipelineSchedulerE0ELNS_24BlockGemmPipelineVersionE2EDF16_DF16_Lb0ELb1EEELb1ELNS_25InMemoryDataOperationEnumE0ELi2ELNS_10TailNumberE10EEEvNT_8ArgumentE
		.amdhsa_group_segment_fixed_size 20480
		.amdhsa_private_segment_fixed_size 16
		.amdhsa_kernarg_size 120
		.amdhsa_user_sgpr_count 2
		.amdhsa_user_sgpr_dispatch_ptr 0
		.amdhsa_user_sgpr_queue_ptr 0
		.amdhsa_user_sgpr_kernarg_segment_ptr 1
		.amdhsa_user_sgpr_dispatch_id 0
		.amdhsa_user_sgpr_private_segment_size 0
		.amdhsa_wavefront_size32 1
		.amdhsa_uses_dynamic_stack 0
		.amdhsa_enable_private_segment 1
		.amdhsa_system_sgpr_workgroup_id_x 1
		.amdhsa_system_sgpr_workgroup_id_y 0
		.amdhsa_system_sgpr_workgroup_id_z 1
		.amdhsa_system_sgpr_workgroup_info 0
		.amdhsa_system_vgpr_workitem_id 0
		.amdhsa_next_free_vgpr 256
		.amdhsa_next_free_sgpr 34
		.amdhsa_reserve_vcc 1
		.amdhsa_float_round_mode_32 0
		.amdhsa_float_round_mode_16_64 0
		.amdhsa_float_denorm_mode_32 3
		.amdhsa_float_denorm_mode_16_64 3
		.amdhsa_fp16_overflow 0
		.amdhsa_workgroup_processor_mode 1
		.amdhsa_memory_ordered 1
		.amdhsa_forward_progress 1
		.amdhsa_inst_pref_size 55
		.amdhsa_round_robin_scheduling 0
		.amdhsa_exception_fp_ieee_invalid_op 0
		.amdhsa_exception_fp_denorm_src 0
		.amdhsa_exception_fp_ieee_div_zero 0
		.amdhsa_exception_fp_ieee_overflow 0
		.amdhsa_exception_fp_ieee_underflow 0
		.amdhsa_exception_fp_ieee_inexact 0
		.amdhsa_exception_int_div_zero 0
	.end_amdhsa_kernel
	.section	.text._ZN2ck27kernel_gemm_xdl_cshuffle_v3INS_28GridwiseGemm_xdl_cshuffle_v3INS_13tensor_layout4gemm8RowMajorENS3_11ColumnMajorES4_DF16_NS_7pk_i4_tEfDF16_DF16_NS_16tensor_operation12element_wise11PassThroughES9_S9_LNS7_6device18GemmSpecializationE0ELi256ELi1ELi128ELi128ELi128ELi64ELi8ELi16ELi16ELi16ELi8ELi1ENS_8SequenceIJLi8ELi32ELi1EEEENSC_IJLi1ELi0ELi2EEEESE_Li2ELi8ELi8ELb0ELi0ENSC_IJLi2ELi128ELi1EEEESE_SE_Li2ELi16ELi16ELb0ELi0ELi1ELi1ENSC_IJLi1ELi16ELi1ELi16EEEELi4ELNS_26BlockGemmPipelineSchedulerE0ELNS_24BlockGemmPipelineVersionE2EDF16_DF16_Lb0ELb1EEELb1ELNS_25InMemoryDataOperationEnumE0ELi2ELNS_10TailNumberE10EEEvNT_8ArgumentE,"axG",@progbits,_ZN2ck27kernel_gemm_xdl_cshuffle_v3INS_28GridwiseGemm_xdl_cshuffle_v3INS_13tensor_layout4gemm8RowMajorENS3_11ColumnMajorES4_DF16_NS_7pk_i4_tEfDF16_DF16_NS_16tensor_operation12element_wise11PassThroughES9_S9_LNS7_6device18GemmSpecializationE0ELi256ELi1ELi128ELi128ELi128ELi64ELi8ELi16ELi16ELi16ELi8ELi1ENS_8SequenceIJLi8ELi32ELi1EEEENSC_IJLi1ELi0ELi2EEEESE_Li2ELi8ELi8ELb0ELi0ENSC_IJLi2ELi128ELi1EEEESE_SE_Li2ELi16ELi16ELb0ELi0ELi1ELi1ENSC_IJLi1ELi16ELi1ELi16EEEELi4ELNS_26BlockGemmPipelineSchedulerE0ELNS_24BlockGemmPipelineVersionE2EDF16_DF16_Lb0ELb1EEELb1ELNS_25InMemoryDataOperationEnumE0ELi2ELNS_10TailNumberE10EEEvNT_8ArgumentE,comdat
.Lfunc_end4:
	.size	_ZN2ck27kernel_gemm_xdl_cshuffle_v3INS_28GridwiseGemm_xdl_cshuffle_v3INS_13tensor_layout4gemm8RowMajorENS3_11ColumnMajorES4_DF16_NS_7pk_i4_tEfDF16_DF16_NS_16tensor_operation12element_wise11PassThroughES9_S9_LNS7_6device18GemmSpecializationE0ELi256ELi1ELi128ELi128ELi128ELi64ELi8ELi16ELi16ELi16ELi8ELi1ENS_8SequenceIJLi8ELi32ELi1EEEENSC_IJLi1ELi0ELi2EEEESE_Li2ELi8ELi8ELb0ELi0ENSC_IJLi2ELi128ELi1EEEESE_SE_Li2ELi16ELi16ELb0ELi0ELi1ELi1ENSC_IJLi1ELi16ELi1ELi16EEEELi4ELNS_26BlockGemmPipelineSchedulerE0ELNS_24BlockGemmPipelineVersionE2EDF16_DF16_Lb0ELb1EEELb1ELNS_25InMemoryDataOperationEnumE0ELi2ELNS_10TailNumberE10EEEvNT_8ArgumentE, .Lfunc_end4-_ZN2ck27kernel_gemm_xdl_cshuffle_v3INS_28GridwiseGemm_xdl_cshuffle_v3INS_13tensor_layout4gemm8RowMajorENS3_11ColumnMajorES4_DF16_NS_7pk_i4_tEfDF16_DF16_NS_16tensor_operation12element_wise11PassThroughES9_S9_LNS7_6device18GemmSpecializationE0ELi256ELi1ELi128ELi128ELi128ELi64ELi8ELi16ELi16ELi16ELi8ELi1ENS_8SequenceIJLi8ELi32ELi1EEEENSC_IJLi1ELi0ELi2EEEESE_Li2ELi8ELi8ELb0ELi0ENSC_IJLi2ELi128ELi1EEEESE_SE_Li2ELi16ELi16ELb0ELi0ELi1ELi1ENSC_IJLi1ELi16ELi1ELi16EEEELi4ELNS_26BlockGemmPipelineSchedulerE0ELNS_24BlockGemmPipelineVersionE2EDF16_DF16_Lb0ELb1EEELb1ELNS_25InMemoryDataOperationEnumE0ELi2ELNS_10TailNumberE10EEEvNT_8ArgumentE
                                        ; -- End function
	.set _ZN2ck27kernel_gemm_xdl_cshuffle_v3INS_28GridwiseGemm_xdl_cshuffle_v3INS_13tensor_layout4gemm8RowMajorENS3_11ColumnMajorES4_DF16_NS_7pk_i4_tEfDF16_DF16_NS_16tensor_operation12element_wise11PassThroughES9_S9_LNS7_6device18GemmSpecializationE0ELi256ELi1ELi128ELi128ELi128ELi64ELi8ELi16ELi16ELi16ELi8ELi1ENS_8SequenceIJLi8ELi32ELi1EEEENSC_IJLi1ELi0ELi2EEEESE_Li2ELi8ELi8ELb0ELi0ENSC_IJLi2ELi128ELi1EEEESE_SE_Li2ELi16ELi16ELb0ELi0ELi1ELi1ENSC_IJLi1ELi16ELi1ELi16EEEELi4ELNS_26BlockGemmPipelineSchedulerE0ELNS_24BlockGemmPipelineVersionE2EDF16_DF16_Lb0ELb1EEELb1ELNS_25InMemoryDataOperationEnumE0ELi2ELNS_10TailNumberE10EEEvNT_8ArgumentE.num_vgpr, 256
	.set _ZN2ck27kernel_gemm_xdl_cshuffle_v3INS_28GridwiseGemm_xdl_cshuffle_v3INS_13tensor_layout4gemm8RowMajorENS3_11ColumnMajorES4_DF16_NS_7pk_i4_tEfDF16_DF16_NS_16tensor_operation12element_wise11PassThroughES9_S9_LNS7_6device18GemmSpecializationE0ELi256ELi1ELi128ELi128ELi128ELi64ELi8ELi16ELi16ELi16ELi8ELi1ENS_8SequenceIJLi8ELi32ELi1EEEENSC_IJLi1ELi0ELi2EEEESE_Li2ELi8ELi8ELb0ELi0ENSC_IJLi2ELi128ELi1EEEESE_SE_Li2ELi16ELi16ELb0ELi0ELi1ELi1ENSC_IJLi1ELi16ELi1ELi16EEEELi4ELNS_26BlockGemmPipelineSchedulerE0ELNS_24BlockGemmPipelineVersionE2EDF16_DF16_Lb0ELb1EEELb1ELNS_25InMemoryDataOperationEnumE0ELi2ELNS_10TailNumberE10EEEvNT_8ArgumentE.num_agpr, 0
	.set _ZN2ck27kernel_gemm_xdl_cshuffle_v3INS_28GridwiseGemm_xdl_cshuffle_v3INS_13tensor_layout4gemm8RowMajorENS3_11ColumnMajorES4_DF16_NS_7pk_i4_tEfDF16_DF16_NS_16tensor_operation12element_wise11PassThroughES9_S9_LNS7_6device18GemmSpecializationE0ELi256ELi1ELi128ELi128ELi128ELi64ELi8ELi16ELi16ELi16ELi8ELi1ENS_8SequenceIJLi8ELi32ELi1EEEENSC_IJLi1ELi0ELi2EEEESE_Li2ELi8ELi8ELb0ELi0ENSC_IJLi2ELi128ELi1EEEESE_SE_Li2ELi16ELi16ELb0ELi0ELi1ELi1ENSC_IJLi1ELi16ELi1ELi16EEEELi4ELNS_26BlockGemmPipelineSchedulerE0ELNS_24BlockGemmPipelineVersionE2EDF16_DF16_Lb0ELb1EEELb1ELNS_25InMemoryDataOperationEnumE0ELi2ELNS_10TailNumberE10EEEvNT_8ArgumentE.numbered_sgpr, 34
	.set _ZN2ck27kernel_gemm_xdl_cshuffle_v3INS_28GridwiseGemm_xdl_cshuffle_v3INS_13tensor_layout4gemm8RowMajorENS3_11ColumnMajorES4_DF16_NS_7pk_i4_tEfDF16_DF16_NS_16tensor_operation12element_wise11PassThroughES9_S9_LNS7_6device18GemmSpecializationE0ELi256ELi1ELi128ELi128ELi128ELi64ELi8ELi16ELi16ELi16ELi8ELi1ENS_8SequenceIJLi8ELi32ELi1EEEENSC_IJLi1ELi0ELi2EEEESE_Li2ELi8ELi8ELb0ELi0ENSC_IJLi2ELi128ELi1EEEESE_SE_Li2ELi16ELi16ELb0ELi0ELi1ELi1ENSC_IJLi1ELi16ELi1ELi16EEEELi4ELNS_26BlockGemmPipelineSchedulerE0ELNS_24BlockGemmPipelineVersionE2EDF16_DF16_Lb0ELb1EEELb1ELNS_25InMemoryDataOperationEnumE0ELi2ELNS_10TailNumberE10EEEvNT_8ArgumentE.num_named_barrier, 0
	.set _ZN2ck27kernel_gemm_xdl_cshuffle_v3INS_28GridwiseGemm_xdl_cshuffle_v3INS_13tensor_layout4gemm8RowMajorENS3_11ColumnMajorES4_DF16_NS_7pk_i4_tEfDF16_DF16_NS_16tensor_operation12element_wise11PassThroughES9_S9_LNS7_6device18GemmSpecializationE0ELi256ELi1ELi128ELi128ELi128ELi64ELi8ELi16ELi16ELi16ELi8ELi1ENS_8SequenceIJLi8ELi32ELi1EEEENSC_IJLi1ELi0ELi2EEEESE_Li2ELi8ELi8ELb0ELi0ENSC_IJLi2ELi128ELi1EEEESE_SE_Li2ELi16ELi16ELb0ELi0ELi1ELi1ENSC_IJLi1ELi16ELi1ELi16EEEELi4ELNS_26BlockGemmPipelineSchedulerE0ELNS_24BlockGemmPipelineVersionE2EDF16_DF16_Lb0ELb1EEELb1ELNS_25InMemoryDataOperationEnumE0ELi2ELNS_10TailNumberE10EEEvNT_8ArgumentE.private_seg_size, 16
	.set _ZN2ck27kernel_gemm_xdl_cshuffle_v3INS_28GridwiseGemm_xdl_cshuffle_v3INS_13tensor_layout4gemm8RowMajorENS3_11ColumnMajorES4_DF16_NS_7pk_i4_tEfDF16_DF16_NS_16tensor_operation12element_wise11PassThroughES9_S9_LNS7_6device18GemmSpecializationE0ELi256ELi1ELi128ELi128ELi128ELi64ELi8ELi16ELi16ELi16ELi8ELi1ENS_8SequenceIJLi8ELi32ELi1EEEENSC_IJLi1ELi0ELi2EEEESE_Li2ELi8ELi8ELb0ELi0ENSC_IJLi2ELi128ELi1EEEESE_SE_Li2ELi16ELi16ELb0ELi0ELi1ELi1ENSC_IJLi1ELi16ELi1ELi16EEEELi4ELNS_26BlockGemmPipelineSchedulerE0ELNS_24BlockGemmPipelineVersionE2EDF16_DF16_Lb0ELb1EEELb1ELNS_25InMemoryDataOperationEnumE0ELi2ELNS_10TailNumberE10EEEvNT_8ArgumentE.uses_vcc, 1
	.set _ZN2ck27kernel_gemm_xdl_cshuffle_v3INS_28GridwiseGemm_xdl_cshuffle_v3INS_13tensor_layout4gemm8RowMajorENS3_11ColumnMajorES4_DF16_NS_7pk_i4_tEfDF16_DF16_NS_16tensor_operation12element_wise11PassThroughES9_S9_LNS7_6device18GemmSpecializationE0ELi256ELi1ELi128ELi128ELi128ELi64ELi8ELi16ELi16ELi16ELi8ELi1ENS_8SequenceIJLi8ELi32ELi1EEEENSC_IJLi1ELi0ELi2EEEESE_Li2ELi8ELi8ELb0ELi0ENSC_IJLi2ELi128ELi1EEEESE_SE_Li2ELi16ELi16ELb0ELi0ELi1ELi1ENSC_IJLi1ELi16ELi1ELi16EEEELi4ELNS_26BlockGemmPipelineSchedulerE0ELNS_24BlockGemmPipelineVersionE2EDF16_DF16_Lb0ELb1EEELb1ELNS_25InMemoryDataOperationEnumE0ELi2ELNS_10TailNumberE10EEEvNT_8ArgumentE.uses_flat_scratch, 0
	.set _ZN2ck27kernel_gemm_xdl_cshuffle_v3INS_28GridwiseGemm_xdl_cshuffle_v3INS_13tensor_layout4gemm8RowMajorENS3_11ColumnMajorES4_DF16_NS_7pk_i4_tEfDF16_DF16_NS_16tensor_operation12element_wise11PassThroughES9_S9_LNS7_6device18GemmSpecializationE0ELi256ELi1ELi128ELi128ELi128ELi64ELi8ELi16ELi16ELi16ELi8ELi1ENS_8SequenceIJLi8ELi32ELi1EEEENSC_IJLi1ELi0ELi2EEEESE_Li2ELi8ELi8ELb0ELi0ENSC_IJLi2ELi128ELi1EEEESE_SE_Li2ELi16ELi16ELb0ELi0ELi1ELi1ENSC_IJLi1ELi16ELi1ELi16EEEELi4ELNS_26BlockGemmPipelineSchedulerE0ELNS_24BlockGemmPipelineVersionE2EDF16_DF16_Lb0ELb1EEELb1ELNS_25InMemoryDataOperationEnumE0ELi2ELNS_10TailNumberE10EEEvNT_8ArgumentE.has_dyn_sized_stack, 0
	.set _ZN2ck27kernel_gemm_xdl_cshuffle_v3INS_28GridwiseGemm_xdl_cshuffle_v3INS_13tensor_layout4gemm8RowMajorENS3_11ColumnMajorES4_DF16_NS_7pk_i4_tEfDF16_DF16_NS_16tensor_operation12element_wise11PassThroughES9_S9_LNS7_6device18GemmSpecializationE0ELi256ELi1ELi128ELi128ELi128ELi64ELi8ELi16ELi16ELi16ELi8ELi1ENS_8SequenceIJLi8ELi32ELi1EEEENSC_IJLi1ELi0ELi2EEEESE_Li2ELi8ELi8ELb0ELi0ENSC_IJLi2ELi128ELi1EEEESE_SE_Li2ELi16ELi16ELb0ELi0ELi1ELi1ENSC_IJLi1ELi16ELi1ELi16EEEELi4ELNS_26BlockGemmPipelineSchedulerE0ELNS_24BlockGemmPipelineVersionE2EDF16_DF16_Lb0ELb1EEELb1ELNS_25InMemoryDataOperationEnumE0ELi2ELNS_10TailNumberE10EEEvNT_8ArgumentE.has_recursion, 0
	.set _ZN2ck27kernel_gemm_xdl_cshuffle_v3INS_28GridwiseGemm_xdl_cshuffle_v3INS_13tensor_layout4gemm8RowMajorENS3_11ColumnMajorES4_DF16_NS_7pk_i4_tEfDF16_DF16_NS_16tensor_operation12element_wise11PassThroughES9_S9_LNS7_6device18GemmSpecializationE0ELi256ELi1ELi128ELi128ELi128ELi64ELi8ELi16ELi16ELi16ELi8ELi1ENS_8SequenceIJLi8ELi32ELi1EEEENSC_IJLi1ELi0ELi2EEEESE_Li2ELi8ELi8ELb0ELi0ENSC_IJLi2ELi128ELi1EEEESE_SE_Li2ELi16ELi16ELb0ELi0ELi1ELi1ENSC_IJLi1ELi16ELi1ELi16EEEELi4ELNS_26BlockGemmPipelineSchedulerE0ELNS_24BlockGemmPipelineVersionE2EDF16_DF16_Lb0ELb1EEELb1ELNS_25InMemoryDataOperationEnumE0ELi2ELNS_10TailNumberE10EEEvNT_8ArgumentE.has_indirect_call, 0
	.section	.AMDGPU.csdata,"",@progbits
; Kernel info:
; codeLenInByte = 6920
; TotalNumSgprs: 36
; NumVgprs: 256
; ScratchSize: 16
; MemoryBound: 0
; FloatMode: 240
; IeeeMode: 1
; LDSByteSize: 20480 bytes/workgroup (compile time only)
; SGPRBlocks: 0
; VGPRBlocks: 31
; NumSGPRsForWavesPerEU: 36
; NumVGPRsForWavesPerEU: 256
; Occupancy: 5
; WaveLimiterHint : 0
; COMPUTE_PGM_RSRC2:SCRATCH_EN: 1
; COMPUTE_PGM_RSRC2:USER_SGPR: 2
; COMPUTE_PGM_RSRC2:TRAP_HANDLER: 0
; COMPUTE_PGM_RSRC2:TGID_X_EN: 1
; COMPUTE_PGM_RSRC2:TGID_Y_EN: 0
; COMPUTE_PGM_RSRC2:TGID_Z_EN: 1
; COMPUTE_PGM_RSRC2:TIDIG_COMP_CNT: 0
	.section	.AMDGPU.gpr_maximums,"",@progbits
	.set amdgpu.max_num_vgpr, 0
	.set amdgpu.max_num_agpr, 0
	.set amdgpu.max_num_sgpr, 0
	.section	.AMDGPU.csdata,"",@progbits
	.type	__hip_cuid_a1305160e1ad1182,@object ; @__hip_cuid_a1305160e1ad1182
	.section	.bss,"aw",@nobits
	.globl	__hip_cuid_a1305160e1ad1182
__hip_cuid_a1305160e1ad1182:
	.byte	0                               ; 0x0
	.size	__hip_cuid_a1305160e1ad1182, 1

	.ident	"AMD clang version 22.0.0git (https://github.com/RadeonOpenCompute/llvm-project roc-7.2.4 26084 f58b06dce1f9c15707c5f808fd002e18c2accf7e)"
	.section	".note.GNU-stack","",@progbits
	.addrsig
	.addrsig_sym __hip_cuid_a1305160e1ad1182
	.amdgpu_metadata
---
amdhsa.kernels:
  - .args:           []
    .group_segment_fixed_size: 0
    .kernarg_segment_align: 4
    .kernarg_segment_size: 0
    .language:       OpenCL C
    .language_version:
      - 2
      - 0
    .max_flat_workgroup_size: 1024
    .name:           _ZN2ckL12flush_icacheEv
    .private_segment_fixed_size: 0
    .sgpr_count:     0
    .sgpr_spill_count: 0
    .symbol:         _ZN2ckL12flush_icacheEv.kd
    .uniform_work_group_size: 1
    .uses_dynamic_stack: false
    .vgpr_count:     0
    .vgpr_spill_count: 0
    .wavefront_size: 32
    .workgroup_processor_mode: 1
  - .args:
      - .offset:         0
        .size:           120
        .value_kind:     by_value
    .group_segment_fixed_size: 0
    .kernarg_segment_align: 8
    .kernarg_segment_size: 120
    .language:       OpenCL C
    .language_version:
      - 2
      - 0
    .max_flat_workgroup_size: 256
    .name:           _ZN2ck27kernel_gemm_xdl_cshuffle_v3INS_28GridwiseGemm_xdl_cshuffle_v3INS_13tensor_layout4gemm8RowMajorENS3_11ColumnMajorES4_DF16_NS_7pk_i4_tEfDF16_DF16_NS_16tensor_operation12element_wise11PassThroughES9_S9_LNS7_6device18GemmSpecializationE0ELi256ELi1ELi128ELi128ELi128ELi64ELi8ELi16ELi16ELi16ELi8ELi2ENS_8SequenceIJLi8ELi32ELi1EEEENSC_IJLi1ELi0ELi2EEEESE_Li2ELi8ELi8ELb0ELi0ENSC_IJLi2ELi128ELi1EEEESE_SE_Li2ELi16ELi16ELb0ELi0ELi1ELi1ENSC_IJLi1ELi16ELi1ELi16EEEELi4ELNS_26BlockGemmPipelineSchedulerE0ELNS_24BlockGemmPipelineVersionE2EDF16_DF16_Lb0ELb1EEELb1ELNS_25InMemoryDataOperationEnumE1ELi2ELNS_10TailNumberE10EEEvNT_8ArgumentE
    .private_segment_fixed_size: 0
    .sgpr_count:     0
    .sgpr_spill_count: 0
    .symbol:         _ZN2ck27kernel_gemm_xdl_cshuffle_v3INS_28GridwiseGemm_xdl_cshuffle_v3INS_13tensor_layout4gemm8RowMajorENS3_11ColumnMajorES4_DF16_NS_7pk_i4_tEfDF16_DF16_NS_16tensor_operation12element_wise11PassThroughES9_S9_LNS7_6device18GemmSpecializationE0ELi256ELi1ELi128ELi128ELi128ELi64ELi8ELi16ELi16ELi16ELi8ELi2ENS_8SequenceIJLi8ELi32ELi1EEEENSC_IJLi1ELi0ELi2EEEESE_Li2ELi8ELi8ELb0ELi0ENSC_IJLi2ELi128ELi1EEEESE_SE_Li2ELi16ELi16ELb0ELi0ELi1ELi1ENSC_IJLi1ELi16ELi1ELi16EEEELi4ELNS_26BlockGemmPipelineSchedulerE0ELNS_24BlockGemmPipelineVersionE2EDF16_DF16_Lb0ELb1EEELb1ELNS_25InMemoryDataOperationEnumE1ELi2ELNS_10TailNumberE10EEEvNT_8ArgumentE.kd
    .uniform_work_group_size: 1
    .uses_dynamic_stack: false
    .vgpr_count:     0
    .vgpr_spill_count: 0
    .wavefront_size: 32
    .workgroup_processor_mode: 1
  - .args:
      - .offset:         0
        .size:           120
        .value_kind:     by_value
    .group_segment_fixed_size: 0
    .kernarg_segment_align: 8
    .kernarg_segment_size: 120
    .language:       OpenCL C
    .language_version:
      - 2
      - 0
    .max_flat_workgroup_size: 256
    .name:           _ZN2ck27kernel_gemm_xdl_cshuffle_v3INS_28GridwiseGemm_xdl_cshuffle_v3INS_13tensor_layout4gemm8RowMajorENS3_11ColumnMajorES4_DF16_NS_7pk_i4_tEfDF16_DF16_NS_16tensor_operation12element_wise11PassThroughES9_S9_LNS7_6device18GemmSpecializationE0ELi256ELi1ELi128ELi128ELi128ELi64ELi8ELi16ELi16ELi16ELi8ELi2ENS_8SequenceIJLi8ELi32ELi1EEEENSC_IJLi1ELi0ELi2EEEESE_Li2ELi8ELi8ELb0ELi0ENSC_IJLi2ELi128ELi1EEEESE_SE_Li2ELi16ELi16ELb0ELi0ELi1ELi1ENSC_IJLi1ELi16ELi1ELi16EEEELi4ELNS_26BlockGemmPipelineSchedulerE0ELNS_24BlockGemmPipelineVersionE2EDF16_DF16_Lb0ELb1EEELb1ELNS_25InMemoryDataOperationEnumE0ELi2ELNS_10TailNumberE10EEEvNT_8ArgumentE
    .private_segment_fixed_size: 0
    .sgpr_count:     0
    .sgpr_spill_count: 0
    .symbol:         _ZN2ck27kernel_gemm_xdl_cshuffle_v3INS_28GridwiseGemm_xdl_cshuffle_v3INS_13tensor_layout4gemm8RowMajorENS3_11ColumnMajorES4_DF16_NS_7pk_i4_tEfDF16_DF16_NS_16tensor_operation12element_wise11PassThroughES9_S9_LNS7_6device18GemmSpecializationE0ELi256ELi1ELi128ELi128ELi128ELi64ELi8ELi16ELi16ELi16ELi8ELi2ENS_8SequenceIJLi8ELi32ELi1EEEENSC_IJLi1ELi0ELi2EEEESE_Li2ELi8ELi8ELb0ELi0ENSC_IJLi2ELi128ELi1EEEESE_SE_Li2ELi16ELi16ELb0ELi0ELi1ELi1ENSC_IJLi1ELi16ELi1ELi16EEEELi4ELNS_26BlockGemmPipelineSchedulerE0ELNS_24BlockGemmPipelineVersionE2EDF16_DF16_Lb0ELb1EEELb1ELNS_25InMemoryDataOperationEnumE0ELi2ELNS_10TailNumberE10EEEvNT_8ArgumentE.kd
    .uniform_work_group_size: 1
    .uses_dynamic_stack: false
    .vgpr_count:     0
    .vgpr_spill_count: 0
    .wavefront_size: 32
    .workgroup_processor_mode: 1
  - .args:
      - .offset:         0
        .size:           120
        .value_kind:     by_value
    .group_segment_fixed_size: 20480
    .kernarg_segment_align: 8
    .kernarg_segment_size: 120
    .language:       OpenCL C
    .language_version:
      - 2
      - 0
    .max_flat_workgroup_size: 256
    .name:           _ZN2ck27kernel_gemm_xdl_cshuffle_v3INS_28GridwiseGemm_xdl_cshuffle_v3INS_13tensor_layout4gemm8RowMajorENS3_11ColumnMajorES4_DF16_NS_7pk_i4_tEfDF16_DF16_NS_16tensor_operation12element_wise11PassThroughES9_S9_LNS7_6device18GemmSpecializationE0ELi256ELi1ELi128ELi128ELi128ELi64ELi8ELi16ELi16ELi16ELi8ELi1ENS_8SequenceIJLi8ELi32ELi1EEEENSC_IJLi1ELi0ELi2EEEESE_Li2ELi8ELi8ELb0ELi0ENSC_IJLi2ELi128ELi1EEEESE_SE_Li2ELi16ELi16ELb0ELi0ELi1ELi1ENSC_IJLi1ELi16ELi1ELi16EEEELi4ELNS_26BlockGemmPipelineSchedulerE0ELNS_24BlockGemmPipelineVersionE2EDF16_DF16_Lb0ELb1EEELb1ELNS_25InMemoryDataOperationEnumE1ELi2ELNS_10TailNumberE10EEEvNT_8ArgumentE
    .private_segment_fixed_size: 16
    .sgpr_count:     36
    .sgpr_spill_count: 0
    .symbol:         _ZN2ck27kernel_gemm_xdl_cshuffle_v3INS_28GridwiseGemm_xdl_cshuffle_v3INS_13tensor_layout4gemm8RowMajorENS3_11ColumnMajorES4_DF16_NS_7pk_i4_tEfDF16_DF16_NS_16tensor_operation12element_wise11PassThroughES9_S9_LNS7_6device18GemmSpecializationE0ELi256ELi1ELi128ELi128ELi128ELi64ELi8ELi16ELi16ELi16ELi8ELi1ENS_8SequenceIJLi8ELi32ELi1EEEENSC_IJLi1ELi0ELi2EEEESE_Li2ELi8ELi8ELb0ELi0ENSC_IJLi2ELi128ELi1EEEESE_SE_Li2ELi16ELi16ELb0ELi0ELi1ELi1ENSC_IJLi1ELi16ELi1ELi16EEEELi4ELNS_26BlockGemmPipelineSchedulerE0ELNS_24BlockGemmPipelineVersionE2EDF16_DF16_Lb0ELb1EEELb1ELNS_25InMemoryDataOperationEnumE1ELi2ELNS_10TailNumberE10EEEvNT_8ArgumentE.kd
    .uniform_work_group_size: 1
    .uses_dynamic_stack: false
    .vgpr_count:     256
    .vgpr_spill_count: 3
    .wavefront_size: 32
    .workgroup_processor_mode: 1
  - .args:
      - .offset:         0
        .size:           120
        .value_kind:     by_value
    .group_segment_fixed_size: 20480
    .kernarg_segment_align: 8
    .kernarg_segment_size: 120
    .language:       OpenCL C
    .language_version:
      - 2
      - 0
    .max_flat_workgroup_size: 256
    .name:           _ZN2ck27kernel_gemm_xdl_cshuffle_v3INS_28GridwiseGemm_xdl_cshuffle_v3INS_13tensor_layout4gemm8RowMajorENS3_11ColumnMajorES4_DF16_NS_7pk_i4_tEfDF16_DF16_NS_16tensor_operation12element_wise11PassThroughES9_S9_LNS7_6device18GemmSpecializationE0ELi256ELi1ELi128ELi128ELi128ELi64ELi8ELi16ELi16ELi16ELi8ELi1ENS_8SequenceIJLi8ELi32ELi1EEEENSC_IJLi1ELi0ELi2EEEESE_Li2ELi8ELi8ELb0ELi0ENSC_IJLi2ELi128ELi1EEEESE_SE_Li2ELi16ELi16ELb0ELi0ELi1ELi1ENSC_IJLi1ELi16ELi1ELi16EEEELi4ELNS_26BlockGemmPipelineSchedulerE0ELNS_24BlockGemmPipelineVersionE2EDF16_DF16_Lb0ELb1EEELb1ELNS_25InMemoryDataOperationEnumE0ELi2ELNS_10TailNumberE10EEEvNT_8ArgumentE
    .private_segment_fixed_size: 16
    .sgpr_count:     36
    .sgpr_spill_count: 0
    .symbol:         _ZN2ck27kernel_gemm_xdl_cshuffle_v3INS_28GridwiseGemm_xdl_cshuffle_v3INS_13tensor_layout4gemm8RowMajorENS3_11ColumnMajorES4_DF16_NS_7pk_i4_tEfDF16_DF16_NS_16tensor_operation12element_wise11PassThroughES9_S9_LNS7_6device18GemmSpecializationE0ELi256ELi1ELi128ELi128ELi128ELi64ELi8ELi16ELi16ELi16ELi8ELi1ENS_8SequenceIJLi8ELi32ELi1EEEENSC_IJLi1ELi0ELi2EEEESE_Li2ELi8ELi8ELb0ELi0ENSC_IJLi2ELi128ELi1EEEESE_SE_Li2ELi16ELi16ELb0ELi0ELi1ELi1ENSC_IJLi1ELi16ELi1ELi16EEEELi4ELNS_26BlockGemmPipelineSchedulerE0ELNS_24BlockGemmPipelineVersionE2EDF16_DF16_Lb0ELb1EEELb1ELNS_25InMemoryDataOperationEnumE0ELi2ELNS_10TailNumberE10EEEvNT_8ArgumentE.kd
    .uniform_work_group_size: 1
    .uses_dynamic_stack: false
    .vgpr_count:     256
    .vgpr_spill_count: 3
    .wavefront_size: 32
    .workgroup_processor_mode: 1
amdhsa.target:   amdgcn-amd-amdhsa--gfx1201
amdhsa.version:
  - 1
  - 2
...

	.end_amdgpu_metadata
